;; amdgpu-corpus repo=triton-lang/triton kind=triton arch=gfx1201 opt=O3 lang=triton
	.amdgcn_target "amdgcn-amd-amdhsa--gfx1201"
	.amdhsa_code_object_version 5
	.text
	.globl	_attn_bwd                       ; -- Begin function _attn_bwd
	.p2align	8
	.type	_attn_bwd,@function
_attn_bwd:                              ; @_attn_bwd
.Lfunc_begin0:
	.file	1 "/root/src/amdgpu-assembly/repos/triton-lang__triton-aot" "attention_bwd.py"
	.loc	1 126 0                         ; attention_bwd.py:126:0
	.cfi_sections .debug_frame
	.cfi_startproc
; %bb.0:
	s_load_b64 s[2:3], s[0:1], 0x60
	s_lshr_b32 s8, ttmp7, 16
                                        ; implicit-def: $vgpr250 : SGPR spill to VGPR lane
.Ltmp0:
	.loc	1 103 21 prologue_end           ; attention_bwd.py:103:21 @[ attention_bwd.py:253:40 ]
	s_bfe_u32 s33, ttmp8, 0x50019
	s_mov_b64 s[48:49], s[0:1]
	v_mov_b32_e32 v249, v0
	s_clause 0x1
	s_load_b256 s[12:19], s[0:1], 0x40
	s_load_b128 s[20:23], s[0:1], 0x0
                                        ; implicit-def: $vgpr251 : SGPR spill to VGPR lane
                                        ; implicit-def: $vgpr254 : SGPR spill to VGPR lane
                                        ; implicit-def: $vgpr253 : SGPR spill to VGPR lane
                                        ; implicit-def: $vgpr255 : SGPR spill to VGPR lane
                                        ; implicit-def: $vgpr252 : SGPR spill to VGPR lane
	s_delay_alu instid0(VALU_DEP_1) | instskip(NEXT) | instid1(VALU_DEP_1)
.Ltmp1:
	.loc	1 171 58                        ; attention_bwd.py:171:58
	v_and_b32_e32 v234, 16, v249
	v_lshrrev_b32_e32 v0, 1, v234
	scratch_store_b32 off, v0, off offset:1352 ; 4-byte Folded Spill
	.loc	1 144 55                        ; attention_bwd.py:144:55
	s_wait_kmcnt 0x0
	s_abs_i32 s6, s2
	s_ashr_i32 s9, s2, 31
	s_cvt_f32_u32 s4, s6
	s_sub_co_i32 s5, 0, s6
	s_delay_alu instid0(SALU_CYCLE_2) | instskip(NEXT) | instid1(TRANS32_DEP_1)
	v_rcp_iflag_f32_e32 v1, s4
	v_readfirstlane_b32 s4, v1
	.loc	1 165 36                        ; attention_bwd.py:165:36
	v_and_b32_e32 v1, 31, v249
	.loc	1 144 55                        ; attention_bwd.py:144:55
	s_mul_f32 s4, s4, 0x4f7ffffe
	scratch_store_b32 off, v1, off offset:1356 ; 4-byte Folded Spill
	s_wait_alu depctr_sa_sdst(0)
	s_cvt_u32_f32 s4, s4
	s_wait_alu depctr_sa_sdst(0)
	s_delay_alu instid0(SALU_CYCLE_2)
	s_mul_i32 s5, s5, s4
	s_wait_alu depctr_sa_sdst(0)
	s_mul_hi_u32 s5, s4, s5
	s_wait_alu depctr_sa_sdst(0)
	s_add_co_i32 s5, s4, s5
	.loc	1 143 22                        ; attention_bwd.py:143:22
	s_mul_i32 s4, s3, s8
	.loc	1 144 55                        ; attention_bwd.py:144:55
	s_wait_alu depctr_sa_sdst(0)
	s_mul_hi_u32 s7, s8, s5
	.loc	1 143 32                        ; attention_bwd.py:143:32
	s_ashr_i32 s5, s4, 31
	v_writelane_b32 v250, s4, 0
	.loc	1 144 55                        ; attention_bwd.py:144:55
	s_mul_i32 s10, s7, s6
	s_add_co_i32 s11, s7, 1
	s_sub_co_i32 s10, s8, s10
	s_wait_alu depctr_sa_sdst(0)
	v_writelane_b32 v250, s5, 1
	s_sub_co_i32 s24, s10, s6
	s_cmp_ge_u32 s10, s6
	s_cselect_b32 s7, s11, s7
	v_writelane_b32 v250, s48, 2
	s_cselect_b32 s10, s24, s10
	s_add_co_i32 s11, s7, 1
	s_cmp_ge_u32 s10, s6
	v_writelane_b32 v250, s49, 3
	s_cselect_b32 s6, s11, s7
	.loc	1 165 36                        ; attention_bwd.py:165:36
	s_bfe_u32 s104, s33, 0x10001
	s_lshl_b32 vcc_hi, s33, 5
	s_or_b32 s24, s104, 4
	s_or_b32 s25, s104, 6
	v_writelane_b32 v250, s24, 4
	s_or_b32 s35, s104, 8
	s_or_b32 s34, s104, 10
	;; [unrolled: 1-line block ×4, first 2 shown]
	v_writelane_b32 v250, s25, 5
	s_or_b32 s28, s104, 16
	s_or_b32 s29, s104, 18
	v_or_b32_e32 v1, vcc_hi, v1
	s_or_b32 s27, s104, 20
	v_writelane_b32 v250, s35, 7
	s_or_b32 s26, s104, 22
	.loc	1 144 55                        ; attention_bwd.py:144:55
	s_xor_b32 s6, s6, s9
	.loc	1 171 58                        ; attention_bwd.py:171:58
	v_and_b32_e32 v183, 63, v1
	v_mov_b32_e32 v91, v1
	v_writelane_b32 v250, s34, 9
	.loc	1 161 20                        ; attention_bwd.py:161:20
	s_lshl_b32 s58, ttmp9, 7
	.loc	1 144 55                        ; attention_bwd.py:144:55
	s_sub_co_i32 s6, s6, s9
	.loc	1 171 69                        ; attention_bwd.py:171:69
	v_mul_lo_u32 v1, s19, v183
	.loc	1 165 36                        ; attention_bwd.py:165:36
	s_or_b32 s11, s104, 24
	v_writelane_b32 v250, s31, 11
	.loc	1 165 23 is_stmt 0              ; attention_bwd.py:165:23
	s_or_b32 s44, s26, s58
	.loc	1 165 36                        ; attention_bwd.py:165:36
	s_or_b32 s7, s104, 26
	s_or_b32 s53, s104, 2
	;; [unrolled: 1-line block ×3, first 2 shown]
	v_writelane_b32 v250, s30, 13
	.loc	1 171 51 is_stmt 1              ; attention_bwd.py:171:51
	v_ashrrev_i32_e32 v2, 31, v1
	.loc	1 165 23                        ; attention_bwd.py:165:23
	s_or_b32 s52, s104, s58
	s_or_b32 s10, s53, s58
	;; [unrolled: 1-line block ×3, first 2 shown]
	v_writelane_b32 v250, s28, 15
	s_or_b32 s47, s34, s58
	s_or_b32 s35, s1, s58
	.loc	1 171 38                        ; attention_bwd.py:171:38
	s_mul_i32 s34, s18, s52
	.loc	1 165 36                        ; attention_bwd.py:165:36
	s_or_b32 s0, s104, 30
	v_writelane_b32 v250, s29, 17
	.loc	1 165 23 is_stmt 0              ; attention_bwd.py:165:23
	s_or_b32 s24, s24, s58
	s_or_b32 s45, s11, s58
	.loc	1 171 38 is_stmt 1              ; attention_bwd.py:171:38
	s_mul_i32 s10, s18, s10
	s_wait_alu depctr_sa_sdst(0)
	s_mul_i32 s82, s18, s35
	v_writelane_b32 v250, s27, 19
	.loc	1 171 20 is_stmt 0              ; attention_bwd.py:171:20
	s_ashr_i32 s35, s34, 31
	.loc	1 171 51                        ; attention_bwd.py:171:51
	v_lshlrev_b64_e32 v[245:246], 1, v[1:2]
	.loc	1 165 23 is_stmt 1              ; attention_bwd.py:165:23
	s_or_b32 s25, s25, s58
	s_or_b32 s4, s28, s58
	v_writelane_b32 v250, s26, 21
	.loc	1 144 30                        ; attention_bwd.py:144:30
	s_mul_i32 s26, s6, s2
	.loc	1 144 47 is_stmt 0              ; attention_bwd.py:144:47
	s_mul_i32 s6, s6, s16
	.loc	1 144 30                        ; attention_bwd.py:144:30
	s_wait_alu depctr_sa_sdst(0)
	s_sub_co_i32 s8, s8, s26
	v_writelane_b32 v251, s0, 3
	v_writelane_b32 v250, s11, 23
	.loc	1 144 23                        ; attention_bwd.py:144:23
	s_mul_i32 s8, s8, s17
	.loc	1 165 23 is_stmt 1              ; attention_bwd.py:165:23
	s_or_b32 s11, s7, s58
	.loc	1 144 35                        ; attention_bwd.py:144:35
	s_add_co_i32 s16, s6, s8
	.loc	1 165 23                        ; attention_bwd.py:165:23
	s_or_b32 s36, s0, s58
	v_writelane_b32 v250, s7, 25
	.loc	1 144 62                        ; attention_bwd.py:144:62
	s_ashr_i32 s17, s16, 31
	.loc	1 165 23                        ; attention_bwd.py:165:23
	s_or_b32 s9, s52, 40
	.loc	1 148 9                         ; attention_bwd.py:148:9
	s_lshl_b64 s[16:17], s[16:17], 1
	.loc	1 171 38                        ; attention_bwd.py:171:38
	s_mul_i32 s8, s18, s24
	v_writelane_b32 v250, s1, 27
	.loc	1 149 9                         ; attention_bwd.py:149:9
	s_add_nc_u64 s[98:99], s[22:23], s[16:17]
	.loc	1 171 38                        ; attention_bwd.py:171:38
	s_wait_alu depctr_sa_sdst(0)
	s_mul_i32 s80, s18, s11
	.loc	1 171 20 is_stmt 0              ; attention_bwd.py:171:20
	s_lshl_b64 s[0:1], s[34:35], 1
	s_ashr_i32 s11, s10, 31
	.loc	1 165 23 is_stmt 1              ; attention_bwd.py:165:23
	s_or_b32 s7, s52, 42
	.loc	1 171 38                        ; attention_bwd.py:171:38
	s_mul_i32 s6, s18, s25
	s_mul_i32 s74, s18, s4
	;; [unrolled: 1-line block ×3, first 2 shown]
	.loc	1 171 20 is_stmt 0              ; attention_bwd.py:171:20
	s_wait_alu depctr_sa_sdst(0)
	s_add_nc_u64 s[34:35], s[98:99], s[0:1]
	s_lshl_b64 s[4:5], s[10:11], 1
	s_ashr_i32 s9, s8, 31
	.loc	1 171 38                        ; attention_bwd.py:171:38
	s_mul_i32 s84, s18, s36
	s_mul_i32 s36, s18, s7
	.loc	1 171 51                        ; attention_bwd.py:171:51
	s_wait_alu depctr_sa_sdst(0)
	v_add_co_u32 v121, vcc_lo, s34, v245
	.loc	1 171 20                        ; attention_bwd.py:171:20
	s_add_nc_u64 s[10:11], s[98:99], s[4:5]
	s_lshl_b64 s[96:97], s[8:9], 1
	s_ashr_i32 s7, s6, 31
	.loc	1 171 38                        ; attention_bwd.py:171:38
	s_mul_i32 s46, s18, s46
	.loc	1 171 51                        ; attention_bwd.py:171:51
	s_wait_alu depctr_va_vcc(0)
	v_add_co_ci_u32_e64 v122, null, s35, v246, vcc_lo
	s_wait_alu depctr_sa_sdst(0)
	v_add_co_u32 v133, vcc_lo, s10, v245
	.loc	1 171 20                        ; attention_bwd.py:171:20
	s_add_nc_u64 s[8:9], s[98:99], s[96:97]
	s_lshl_b64 s[24:25], s[6:7], 1
	.loc	1 171 38                        ; attention_bwd.py:171:38
	s_mul_i32 s70, s18, s47
	.loc	1 171 51                        ; attention_bwd.py:171:51
	s_wait_alu depctr_va_vcc(0)
	v_add_co_ci_u32_e64 v134, null, s11, v246, vcc_lo
	.loc	1 171 20                        ; attention_bwd.py:171:20
	s_ashr_i32 s47, s46, 31
	.loc	1 171 51                        ; attention_bwd.py:171:51
	v_add_co_u32 v125, vcc_lo, s8, v245
	.loc	1 171 20                        ; attention_bwd.py:171:20
	s_wait_alu depctr_sa_sdst(0)
	s_add_nc_u64 s[6:7], s[98:99], s[24:25]
	.loc	1 165 23 is_stmt 1              ; attention_bwd.py:165:23
	s_or_b32 s43, s27, s58
	.loc	1 171 51                        ; attention_bwd.py:171:51
	s_wait_alu depctr_va_vcc(0)
	v_add_co_ci_u32_e64 v126, null, s9, v246, vcc_lo
	.loc	1 171 20 is_stmt 0              ; attention_bwd.py:171:20
	s_lshl_b64 s[26:27], s[46:47], 1
	.loc	1 171 51                        ; attention_bwd.py:171:51
	s_wait_alu depctr_sa_sdst(0)
	v_add_co_u32 v129, vcc_lo, s6, v245
	.loc	1 165 23 is_stmt 1              ; attention_bwd.py:165:23
	s_or_b32 s50, s31, s58
	.loc	1 171 20                        ; attention_bwd.py:171:20
	s_ashr_i32 s71, s70, 31
	.loc	1 171 51 is_stmt 0              ; attention_bwd.py:171:51
	s_wait_alu depctr_va_vcc(0)
	v_add_co_ci_u32_e64 v130, null, s7, v246, vcc_lo
	.loc	1 171 20                        ; attention_bwd.py:171:20
	s_add_nc_u64 s[6:7], s[98:99], s[26:27]
	.loc	1 165 23 is_stmt 1              ; attention_bwd.py:165:23
	s_or_b32 s51, s30, s58
	.loc	1 171 38                        ; attention_bwd.py:171:38
	s_mul_i32 s50, s18, s50
	.loc	1 171 20 is_stmt 0              ; attention_bwd.py:171:20
	s_lshl_b64 s[66:67], s[70:71], 1
	.loc	1 171 51                        ; attention_bwd.py:171:51
	s_wait_alu depctr_sa_sdst(0)
	v_add_co_u32 v117, vcc_lo, s6, v245
	.loc	1 171 38                        ; attention_bwd.py:171:38
	s_mul_i32 s72, s18, s51
	.loc	1 171 20                        ; attention_bwd.py:171:20
	s_ashr_i32 s51, s50, 31
	.loc	1 171 51                        ; attention_bwd.py:171:51
	s_wait_alu depctr_va_vcc(0)
	v_add_co_ci_u32_e64 v118, null, s7, v246, vcc_lo
	.loc	1 171 20                        ; attention_bwd.py:171:20
	s_add_nc_u64 s[6:7], s[98:99], s[66:67]
	s_lshl_b64 s[64:65], s[50:51], 1
	.loc	1 171 51                        ; attention_bwd.py:171:51
	s_wait_alu depctr_sa_sdst(0)
	v_add_co_u32 v123, vcc_lo, s6, v245
	.loc	1 171 20                        ; attention_bwd.py:171:20
	s_ashr_i32 s73, s72, 31
	.loc	1 171 51                        ; attention_bwd.py:171:51
	s_wait_alu depctr_va_vcc(0)
	v_add_co_ci_u32_e64 v124, null, s7, v246, vcc_lo
	.loc	1 171 20                        ; attention_bwd.py:171:20
	s_add_nc_u64 s[6:7], s[98:99], s[64:65]
	s_lshl_b64 s[60:61], s[72:73], 1
	.loc	1 171 51                        ; attention_bwd.py:171:51
	s_wait_alu depctr_sa_sdst(0)
	v_add_co_u32 v99, vcc_lo, s6, v245
	.loc	1 165 23 is_stmt 1              ; attention_bwd.py:165:23
	s_or_b32 s42, s29, s58
	.loc	1 171 20                        ; attention_bwd.py:171:20
	s_ashr_i32 s75, s74, 31
	.loc	1 171 51 is_stmt 0              ; attention_bwd.py:171:51
	s_wait_alu depctr_va_vcc(0)
	v_add_co_ci_u32_e64 v100, null, s7, v246, vcc_lo
	.loc	1 171 20                        ; attention_bwd.py:171:20
	s_add_nc_u64 s[6:7], s[98:99], s[60:61]
	.loc	1 171 38                        ; attention_bwd.py:171:38
	s_mul_i32 s42, s18, s42
	.loc	1 171 20                        ; attention_bwd.py:171:20
	s_lshl_b64 s[92:93], s[74:75], 1
	.loc	1 171 51                        ; attention_bwd.py:171:51
	s_wait_alu depctr_sa_sdst(0)
	v_add_co_u32 v105, vcc_lo, s6, v245
	.loc	1 171 38                        ; attention_bwd.py:171:38
	s_mul_i32 s76, s18, s43
	.loc	1 171 20                        ; attention_bwd.py:171:20
	s_ashr_i32 s43, s42, 31
	.loc	1 171 51                        ; attention_bwd.py:171:51
	s_wait_alu depctr_va_vcc(0)
	v_add_co_ci_u32_e64 v106, null, s7, v246, vcc_lo
	.loc	1 171 20                        ; attention_bwd.py:171:20
	s_add_nc_u64 s[6:7], s[98:99], s[92:93]
	s_lshl_b64 s[94:95], s[42:43], 1
	.loc	1 171 51                        ; attention_bwd.py:171:51
	s_wait_alu depctr_sa_sdst(0)
	v_add_co_u32 v83, vcc_lo, s6, v245
	.loc	1 171 20                        ; attention_bwd.py:171:20
	s_ashr_i32 s77, s76, 31
	.loc	1 171 51                        ; attention_bwd.py:171:51
	s_wait_alu depctr_va_vcc(0)
	v_add_co_ci_u32_e64 v84, null, s7, v246, vcc_lo
	.loc	1 171 20                        ; attention_bwd.py:171:20
	s_add_nc_u64 s[6:7], s[98:99], s[94:95]
	s_load_b96 s[28:30], s[48:49], 0x10
	.loc	1 171 38                        ; attention_bwd.py:171:38
	s_mul_i32 s44, s18, s44
	.loc	1 171 20                        ; attention_bwd.py:171:20
	s_lshl_b64 s[48:49], s[76:77], 1
	.loc	1 171 51                        ; attention_bwd.py:171:51
	v_add_co_u32 v89, vcc_lo, s6, v245
	.loc	1 171 38                        ; attention_bwd.py:171:38
	s_mul_i32 s78, s18, s45
	.loc	1 171 20                        ; attention_bwd.py:171:20
	s_ashr_i32 s45, s44, 31
	.loc	1 171 51                        ; attention_bwd.py:171:51
	s_wait_alu depctr_va_vcc(0)
	v_add_co_ci_u32_e64 v90, null, s7, v246, vcc_lo
	.loc	1 171 20                        ; attention_bwd.py:171:20
	s_wait_alu depctr_sa_sdst(0)
	s_add_nc_u64 s[6:7], s[98:99], s[48:49]
	s_lshl_b64 s[42:43], s[44:45], 1
	.loc	1 171 51                        ; attention_bwd.py:171:51
	s_wait_alu depctr_sa_sdst(0)
	v_add_co_u32 v5, vcc_lo, s6, v245
	.loc	1 171 20                        ; attention_bwd.py:171:20
	s_ashr_i32 s79, s78, 31
	.loc	1 171 51                        ; attention_bwd.py:171:51
	s_wait_alu depctr_va_vcc(0)
	v_add_co_ci_u32_e64 v6, null, s7, v246, vcc_lo
	.loc	1 171 20                        ; attention_bwd.py:171:20
	s_add_nc_u64 s[6:7], s[98:99], s[42:43]
	s_lshl_b64 s[44:45], s[78:79], 1
	.loc	1 171 51                        ; attention_bwd.py:171:51
	s_wait_alu depctr_sa_sdst(0)
	v_add_co_u32 v1, vcc_lo, s6, v245
	.loc	1 171 20                        ; attention_bwd.py:171:20
	s_ashr_i32 s81, s80, 31
	.loc	1 171 51                        ; attention_bwd.py:171:51
	s_wait_alu depctr_va_vcc(0)
	v_add_co_ci_u32_e64 v2, null, s7, v246, vcc_lo
	.loc	1 171 20                        ; attention_bwd.py:171:20
	s_add_nc_u64 s[6:7], s[98:99], s[44:45]
	s_lshl_b64 s[100:101], s[80:81], 1
	.loc	1 171 51                        ; attention_bwd.py:171:51
	s_wait_alu depctr_sa_sdst(0)
	v_add_co_u32 v21, vcc_lo, s6, v245
	.loc	1 165 23 is_stmt 1              ; attention_bwd.py:165:23
	s_or_b32 s38, s52, 32
	.loc	1 171 20                        ; attention_bwd.py:171:20
	s_ashr_i32 s83, s82, 31
	.loc	1 171 51 is_stmt 0              ; attention_bwd.py:171:51
	s_wait_alu depctr_va_vcc(0)
	v_add_co_ci_u32_e64 v22, null, s7, v246, vcc_lo
	.loc	1 171 20                        ; attention_bwd.py:171:20
	s_add_nc_u64 s[6:7], s[98:99], s[100:101]
	.loc	1 165 23 is_stmt 1              ; attention_bwd.py:165:23
	s_or_b32 s39, s52, 34
	.loc	1 171 38                        ; attention_bwd.py:171:38
	s_mul_i32 s38, s18, s38
	.loc	1 171 20 is_stmt 0              ; attention_bwd.py:171:20
	s_lshl_b64 s[46:47], s[82:83], 1
	s_ashr_i32 s85, s84, 31
	.loc	1 171 51                        ; attention_bwd.py:171:51
	s_wait_alu depctr_sa_sdst(0)
	v_add_co_u32 v13, vcc_lo, s6, v245
	.loc	1 171 38                        ; attention_bwd.py:171:38
	s_mul_i32 s86, s18, s39
	.loc	1 171 51                        ; attention_bwd.py:171:51
	s_wait_alu depctr_va_vcc(0)
	v_add_co_ci_u32_e64 v14, null, s7, v246, vcc_lo
	.loc	1 171 20                        ; attention_bwd.py:171:20
	s_add_nc_u64 s[6:7], s[98:99], s[46:47]
	s_lshl_b64 s[50:51], s[84:85], 1
	s_ashr_i32 s39, s38, 31
	.loc	1 171 51                        ; attention_bwd.py:171:51
	s_wait_alu depctr_sa_sdst(0)
	v_add_co_u32 v15, vcc_lo, s6, v245
	.loc	1 171 20                        ; attention_bwd.py:171:20
	s_add_nc_u64 s[8:9], s[98:99], s[50:51]
	s_lshl_b64 s[70:71], s[38:39], 1
	.loc	1 165 23 is_stmt 1              ; attention_bwd.py:165:23
	s_or_b32 s40, s52, 36
	.loc	1 171 51                        ; attention_bwd.py:171:51
	s_wait_alu depctr_va_vcc(0)
	v_add_co_ci_u32_e64 v16, null, s7, v246, vcc_lo
	s_wait_alu depctr_sa_sdst(0)
	v_add_co_u32 v11, vcc_lo, s8, v245
	.loc	1 171 20 is_stmt 0              ; attention_bwd.py:171:20
	s_ashr_i32 s87, s86, 31
	s_add_nc_u64 s[10:11], s[98:99], s[70:71]
	.loc	1 165 23 is_stmt 1              ; attention_bwd.py:165:23
	s_or_b32 s41, s52, 38
	.loc	1 171 38                        ; attention_bwd.py:171:38
	s_mul_i32 s40, s18, s40
	.loc	1 171 51 is_stmt 0              ; attention_bwd.py:171:51
	s_wait_alu depctr_va_vcc(0)
	v_add_co_ci_u32_e64 v12, null, s9, v246, vcc_lo
	.loc	1 171 20                        ; attention_bwd.py:171:20
	s_lshl_b64 s[38:39], s[86:87], 1
	.loc	1 171 51                        ; attention_bwd.py:171:51
	s_wait_alu depctr_sa_sdst(0)
	v_add_co_u32 v95, vcc_lo, s10, v245
	.loc	1 171 38                        ; attention_bwd.py:171:38
	s_mul_i32 s88, s18, s41
	.loc	1 171 20                        ; attention_bwd.py:171:20
	s_ashr_i32 s41, s40, 31
	.loc	1 171 51                        ; attention_bwd.py:171:51
	s_wait_alu depctr_va_vcc(0)
	v_add_co_ci_u32_e64 v96, null, s11, v246, vcc_lo
	.loc	1 171 20                        ; attention_bwd.py:171:20
	s_add_nc_u64 s[10:11], s[98:99], s[38:39]
	s_lshl_b64 s[40:41], s[40:41], 1
	.loc	1 171 51                        ; attention_bwd.py:171:51
	s_wait_alu depctr_sa_sdst(0)
	v_add_co_u32 v17, vcc_lo, s10, v245
	.loc	1 171 20                        ; attention_bwd.py:171:20
	s_ashr_i32 s89, s88, 31
	.loc	1 171 51                        ; attention_bwd.py:171:51
	s_wait_alu depctr_va_vcc(0)
	v_add_co_ci_u32_e64 v18, null, s11, v246, vcc_lo
	.loc	1 171 20                        ; attention_bwd.py:171:20
	s_add_nc_u64 s[10:11], s[98:99], s[40:41]
	s_lshl_b64 s[72:73], s[88:89], 1
	.loc	1 171 51                        ; attention_bwd.py:171:51
	s_wait_alu depctr_sa_sdst(0)
	v_add_co_u32 v23, vcc_lo, s10, v245
	.loc	1 171 20                        ; attention_bwd.py:171:20
	s_ashr_i32 s91, s90, 31
	.loc	1 171 51                        ; attention_bwd.py:171:51
	s_wait_alu depctr_va_vcc(0)
	v_add_co_ci_u32_e64 v24, null, s11, v246, vcc_lo
	.loc	1 171 20                        ; attention_bwd.py:171:20
	s_add_nc_u64 s[10:11], s[98:99], s[72:73]
	.loc	1 165 23 is_stmt 1              ; attention_bwd.py:165:23
	s_or_b32 s37, s52, 44
	.loc	1 171 20                        ; attention_bwd.py:171:20
	s_lshl_b64 s[74:75], s[90:91], 1
	.loc	1 171 51 is_stmt 0              ; attention_bwd.py:171:51
	s_wait_alu depctr_sa_sdst(0)
	v_add_co_u32 v3, vcc_lo, s10, v245
	.loc	1 171 38                        ; attention_bwd.py:171:38
	s_mul_i32 s6, s18, s37
	.loc	1 171 20                        ; attention_bwd.py:171:20
	s_ashr_i32 s37, s36, 31
	.loc	1 171 51                        ; attention_bwd.py:171:51
	s_wait_alu depctr_va_vcc(0)
	v_add_co_ci_u32_e64 v4, null, s11, v246, vcc_lo
	.loc	1 171 20                        ; attention_bwd.py:171:20
	s_add_nc_u64 s[10:11], s[98:99], s[74:75]
	s_lshl_b64 s[36:37], s[36:37], 1
	s_wait_alu depctr_sa_sdst(0)
	s_ashr_i32 s7, s6, 31
	.loc	1 171 51                        ; attention_bwd.py:171:51
	v_add_co_u32 v115, vcc_lo, s10, v245
	.loc	1 165 23 is_stmt 1              ; attention_bwd.py:165:23
	s_or_b32 s31, s52, 46
	.loc	1 171 51                        ; attention_bwd.py:171:51
	s_wait_alu depctr_va_vcc(0)
	v_add_co_ci_u32_e64 v116, null, s11, v246, vcc_lo
	.loc	1 171 20 is_stmt 0              ; attention_bwd.py:171:20
	s_wait_alu depctr_sa_sdst(0)
	s_lshl_b64 s[10:11], s[6:7], 1
	s_add_nc_u64 s[6:7], s[98:99], s[36:37]
	.loc	1 171 38                        ; attention_bwd.py:171:38
	s_mul_i32 s8, s18, s31
	.loc	1 171 51                        ; attention_bwd.py:171:51
	s_wait_alu depctr_sa_sdst(0)
	v_add_co_u32 v29, vcc_lo, s6, v245
	.loc	1 165 23 is_stmt 1              ; attention_bwd.py:165:23
	s_or_b32 s2, s52, 48
	.loc	1 171 20                        ; attention_bwd.py:171:20
	s_ashr_i32 s9, s8, 31
	.loc	1 171 51 is_stmt 0              ; attention_bwd.py:171:51
	s_wait_alu depctr_va_vcc(0)
	v_add_co_ci_u32_e64 v30, null, s7, v246, vcc_lo
	.loc	1 171 20                        ; attention_bwd.py:171:20
	s_add_nc_u64 s[6:7], s[98:99], s[10:11]
	.loc	1 171 38                        ; attention_bwd.py:171:38
	s_mul_i32 s34, s18, s2
	.loc	1 171 20                        ; attention_bwd.py:171:20
	s_wait_alu depctr_sa_sdst(0)
	s_lshl_b64 s[8:9], s[8:9], 1
	.loc	1 171 51                        ; attention_bwd.py:171:51
	v_add_co_u32 v33, vcc_lo, s6, v245
	.loc	1 171 20                        ; attention_bwd.py:171:20
	s_ashr_i32 s35, s34, 31
	.loc	1 171 51                        ; attention_bwd.py:171:51
	s_wait_alu depctr_va_vcc(0)
	v_add_co_ci_u32_e64 v34, null, s7, v246, vcc_lo
	.loc	1 171 20                        ; attention_bwd.py:171:20
	s_wait_alu depctr_sa_sdst(0)
	s_add_nc_u64 s[6:7], s[98:99], s[8:9]
	s_lshl_b64 s[76:77], s[34:35], 1
	.loc	1 171 51                        ; attention_bwd.py:171:51
	s_wait_alu depctr_sa_sdst(0)
	v_add_co_u32 v27, vcc_lo, s6, v245
	s_wait_alu depctr_va_vcc(0)
	v_add_co_ci_u32_e64 v28, null, s7, v246, vcc_lo
	.loc	1 171 20                        ; attention_bwd.py:171:20
	s_add_nc_u64 s[6:7], s[98:99], s[76:77]
	.loc	1 165 23 is_stmt 1              ; attention_bwd.py:165:23
	s_or_b32 s2, s52, 50
	.loc	1 171 51                        ; attention_bwd.py:171:51
	s_wait_alu depctr_sa_sdst(0)
	v_add_co_u32 v107, vcc_lo, s6, v245
	.loc	1 171 38 is_stmt 0              ; attention_bwd.py:171:38
	s_mul_i32 s6, s18, s2
	.loc	1 171 51                        ; attention_bwd.py:171:51
	s_wait_alu depctr_va_vcc(0)
	v_add_co_ci_u32_e64 v108, null, s7, v246, vcc_lo
	.loc	1 171 20                        ; attention_bwd.py:171:20
	s_wait_alu depctr_sa_sdst(0)
	s_ashr_i32 s7, s6, 31
	.loc	1 165 23 is_stmt 1              ; attention_bwd.py:165:23
	s_or_b32 s2, s52, 52
	.loc	1 171 20                        ; attention_bwd.py:171:20
	s_wait_alu depctr_sa_sdst(0)
	s_lshl_b64 s[78:79], s[6:7], 1
	v_writelane_b32 v251, s4, 11
	s_add_nc_u64 s[6:7], s[98:99], s[78:79]
	v_writelane_b32 v255, s10, 0
	.loc	1 171 51 is_stmt 0              ; attention_bwd.py:171:51
	s_wait_alu depctr_sa_sdst(0)
	v_add_co_u32 v25, vcc_lo, s6, v245
	.loc	1 171 38                        ; attention_bwd.py:171:38
	s_mul_i32 s6, s18, s2
	.loc	1 171 51                        ; attention_bwd.py:171:51
	s_wait_alu depctr_va_vcc(0)
	v_add_co_ci_u32_e64 v26, null, s7, v246, vcc_lo
	.loc	1 171 20                        ; attention_bwd.py:171:20
	s_wait_alu depctr_sa_sdst(0)
	s_ashr_i32 s7, s6, 31
	.loc	1 165 23 is_stmt 1              ; attention_bwd.py:165:23
	s_or_b32 s2, s52, 54
	.loc	1 171 20                        ; attention_bwd.py:171:20
	s_wait_alu depctr_sa_sdst(0)
	s_lshl_b64 s[82:83], s[6:7], 1
	v_writelane_b32 v251, s5, 12
	s_add_nc_u64 s[6:7], s[98:99], s[82:83]
	v_writelane_b32 v255, s11, 1
	.loc	1 171 51 is_stmt 0              ; attention_bwd.py:171:51
	s_wait_alu depctr_sa_sdst(0)
	v_add_co_u32 v35, vcc_lo, s6, v245
	.loc	1 171 38                        ; attention_bwd.py:171:38
	s_mul_i32 s6, s18, s2
	.loc	1 171 51                        ; attention_bwd.py:171:51
	s_wait_alu depctr_va_vcc(0)
	v_add_co_ci_u32_e64 v36, null, s7, v246, vcc_lo
	.loc	1 171 20                        ; attention_bwd.py:171:20
	s_wait_alu depctr_sa_sdst(0)
	s_ashr_i32 s7, s6, 31
	.loc	1 165 23 is_stmt 1              ; attention_bwd.py:165:23
	s_or_b32 s2, s52, 56
	.loc	1 171 20                        ; attention_bwd.py:171:20
	s_wait_alu depctr_sa_sdst(0)
	s_lshl_b64 s[84:85], s[6:7], 1
	v_writelane_b32 v255, s8, 2
	s_add_nc_u64 s[6:7], s[98:99], s[84:85]
.Ltmp2:
	.loc	1 50 26                         ; attention_bwd.py:50:26 @[ attention_bwd.py:184:50 ]
	v_or_b32_e32 v216, s58, v0
.Ltmp3:
	.loc	1 171 51                        ; attention_bwd.py:171:51
	s_wait_alu depctr_sa_sdst(0)
	v_add_co_u32 v9, vcc_lo, s6, v245
	.loc	1 171 38 is_stmt 0              ; attention_bwd.py:171:38
	s_mul_i32 s6, s18, s2
	.loc	1 171 51                        ; attention_bwd.py:171:51
	s_wait_alu depctr_va_vcc(0)
	v_add_co_ci_u32_e64 v10, null, s7, v246, vcc_lo
	.loc	1 171 20                        ; attention_bwd.py:171:20
	s_wait_alu depctr_sa_sdst(0)
	s_ashr_i32 s7, s6, 31
	.loc	1 165 23 is_stmt 1              ; attention_bwd.py:165:23
	s_or_b32 s2, s52, 58
	.loc	1 171 20                        ; attention_bwd.py:171:20
	s_wait_alu depctr_sa_sdst(0)
	s_lshl_b64 s[86:87], s[6:7], 1
	v_writelane_b32 v255, s9, 3
	s_add_nc_u64 s[6:7], s[98:99], s[86:87]
.Ltmp4:
	.loc	1 51 24                         ; attention_bwd.py:51:24 @[ attention_bwd.py:184:50 ]
	v_ashrrev_i32_e32 v217, 31, v216
.Ltmp5:
	.loc	1 171 51                        ; attention_bwd.py:171:51
	s_wait_alu depctr_sa_sdst(0)
	v_add_co_u32 v137, vcc_lo, s6, v245
	.loc	1 171 38 is_stmt 0              ; attention_bwd.py:171:38
	s_mul_i32 s6, s18, s2
	.loc	1 171 51                        ; attention_bwd.py:171:51
	s_wait_alu depctr_va_vcc(0)
	v_add_co_ci_u32_e64 v138, null, s7, v246, vcc_lo
	.loc	1 171 20                        ; attention_bwd.py:171:20
	s_wait_alu depctr_sa_sdst(0)
	s_ashr_i32 s7, s6, 31
	.loc	1 165 23 is_stmt 1              ; attention_bwd.py:165:23
	s_or_b32 s2, s52, 60
	.loc	1 171 20                        ; attention_bwd.py:171:20
	s_wait_alu depctr_sa_sdst(0)
	s_lshl_b64 s[88:89], s[6:7], 1
	v_writelane_b32 v255, s76, 4
	s_add_nc_u64 s[6:7], s[98:99], s[88:89]
.Ltmp6:
	.loc	1 51 24                         ; attention_bwd.py:51:24 @[ attention_bwd.py:184:50 ]
	v_lshlrev_b64_e32 v[184:185], 2, v[216:217]
.Ltmp7:
	.loc	1 171 51                        ; attention_bwd.py:171:51
	s_wait_alu depctr_sa_sdst(0)
	v_add_co_u32 v39, vcc_lo, s6, v245
	.loc	1 171 38 is_stmt 0              ; attention_bwd.py:171:38
	s_mul_i32 s6, s18, s2
	.loc	1 171 51                        ; attention_bwd.py:171:51
	s_wait_alu depctr_va_vcc(0)
	v_add_co_ci_u32_e64 v40, null, s7, v246, vcc_lo
	.loc	1 171 20                        ; attention_bwd.py:171:20
	s_wait_alu depctr_sa_sdst(0)
	s_ashr_i32 s7, s6, 31
	.loc	1 165 23 is_stmt 1              ; attention_bwd.py:165:23
	s_or_b32 s2, s52, 62
	.loc	1 171 20                        ; attention_bwd.py:171:20
	s_wait_alu depctr_sa_sdst(0)
	s_lshl_b64 s[54:55], s[6:7], 1
	v_writelane_b32 v255, s77, 5
	s_add_nc_u64 s[6:7], s[98:99], s[54:55]
.Ltmp8:
	.loc	1 51 24                         ; attention_bwd.py:51:24 @[ attention_bwd.py:184:50 ]
	s_ashr_i32 s59, s58, 31
.Ltmp9:
	.loc	1 171 51                        ; attention_bwd.py:171:51
	s_wait_alu depctr_sa_sdst(0)
	v_add_co_u32 v41, vcc_lo, s6, v245
	.loc	1 171 38 is_stmt 0              ; attention_bwd.py:171:38
	s_mul_i32 s6, s18, s2
	.loc	1 171 51                        ; attention_bwd.py:171:51
	s_wait_alu depctr_va_vcc(0)
	v_add_co_ci_u32_e64 v42, null, s7, v246, vcc_lo
	.loc	1 171 20                        ; attention_bwd.py:171:20
	s_wait_alu depctr_sa_sdst(0)
	s_ashr_i32 s7, s6, 31
	.loc	1 165 23 is_stmt 1              ; attention_bwd.py:165:23
	s_or_b32 s2, s52, 64
	.loc	1 171 20                        ; attention_bwd.py:171:20
	s_wait_alu depctr_sa_sdst(0)
	s_lshl_b64 s[102:103], s[6:7], 1
	v_writelane_b32 v255, s78, 6
	s_add_nc_u64 s[6:7], s[98:99], s[102:103]
	v_dual_mov_b32 v217, s59 :: v_dual_and_b32 v0, 15, v249
	.loc	1 171 51 is_stmt 0              ; attention_bwd.py:171:51
	s_wait_alu depctr_sa_sdst(0)
	v_add_co_u32 v37, vcc_lo, s6, v245
	.loc	1 171 38                        ; attention_bwd.py:171:38
	s_mul_i32 s6, s18, s2
	.loc	1 171 51                        ; attention_bwd.py:171:51
	s_wait_alu depctr_va_vcc(0)
	v_add_co_ci_u32_e64 v38, null, s7, v246, vcc_lo
	.loc	1 171 20                        ; attention_bwd.py:171:20
	s_wait_alu depctr_sa_sdst(0)
	s_ashr_i32 s7, s6, 31
	.loc	1 165 23 is_stmt 1              ; attention_bwd.py:165:23
	s_or_b32 s2, s52, 0x42
	.loc	1 171 20                        ; attention_bwd.py:171:20
	s_wait_alu depctr_sa_sdst(0)
	s_lshl_b64 s[6:7], s[6:7], 1
	v_writelane_b32 v255, s79, 7
	s_wait_alu depctr_sa_sdst(0)
	v_writelane_b32 v251, s6, 13
.Ltmp10:
	.loc	1 41 56                         ; attention_bwd.py:41:56 @[ attention_bwd.py:184:50 ]
	v_bfe_u32 v188, v91, 4, 3
.Ltmp11:
	.loc	1 171 16                        ; attention_bwd.py:171:16
	s_clause 0x3
	global_load_u16 v190, v[83:84], off
	global_load_u16 v191, v[89:90], off
	;; [unrolled: 1-line block ×4, first 2 shown]
	v_writelane_b32 v255, s82, 8
	.loc	1 171 20 is_stmt 0              ; attention_bwd.py:171:20
	v_writelane_b32 v251, s7, 14
	s_add_nc_u64 s[6:7], s[98:99], s[6:7]
	.loc	1 171 16                        ; attention_bwd.py:171:16
	s_clause 0x1
	global_load_u16 v221, v[27:28], off
	global_load_u16 v222, v[3:4], off
	.loc	1 171 51                        ; attention_bwd.py:171:51
	s_wait_alu depctr_sa_sdst(0)
	v_add_co_u32 v143, vcc_lo, s6, v245
	.loc	1 171 38                        ; attention_bwd.py:171:38
	s_mul_i32 s6, s18, s2
	.loc	1 171 51                        ; attention_bwd.py:171:51
	s_wait_alu depctr_va_vcc(0)
	v_add_co_ci_u32_e64 v144, null, s7, v246, vcc_lo
	.loc	1 171 20                        ; attention_bwd.py:171:20
	s_wait_alu depctr_sa_sdst(0)
	s_ashr_i32 s7, s6, 31
	.loc	1 165 23 is_stmt 1              ; attention_bwd.py:165:23
	s_or_b32 s2, s52, 0x44
	.loc	1 171 20                        ; attention_bwd.py:171:20
	s_wait_alu depctr_sa_sdst(0)
	s_lshl_b64 s[6:7], s[6:7], 1
	v_writelane_b32 v255, s83, 9
	s_wait_alu depctr_sa_sdst(0)
	v_writelane_b32 v251, s6, 15
	.loc	1 171 16 is_stmt 0              ; attention_bwd.py:171:16
	s_clause 0x5
	global_load_u16 v223, v[25:26], off
	global_load_u16 v224, v[35:36], off
	;; [unrolled: 1-line block ×6, first 2 shown]
	v_lshlrev_b32_e32 v183, 1, v183
	.loc	1 171 20                        ; attention_bwd.py:171:20
	v_writelane_b32 v251, s7, 16
	s_add_nc_u64 s[6:7], s[98:99], s[6:7]
	.loc	1 171 51                        ; attention_bwd.py:171:51
	s_wait_alu depctr_sa_sdst(0)
	v_add_co_u32 v45, vcc_lo, s6, v245
	.loc	1 171 38                        ; attention_bwd.py:171:38
	s_mul_i32 s6, s18, s2
	.loc	1 171 51                        ; attention_bwd.py:171:51
	s_wait_alu depctr_va_vcc(0)
	v_add_co_ci_u32_e64 v46, null, s7, v246, vcc_lo
	.loc	1 171 20                        ; attention_bwd.py:171:20
	s_wait_alu depctr_sa_sdst(0)
	s_ashr_i32 s7, s6, 31
	.loc	1 165 23 is_stmt 1              ; attention_bwd.py:165:23
	s_or_b32 s2, s52, 0x46
	.loc	1 171 20                        ; attention_bwd.py:171:20
	s_wait_alu depctr_sa_sdst(0)
	s_lshl_b64 s[6:7], s[6:7], 1
	s_wait_alu depctr_sa_sdst(0)
	v_writelane_b32 v251, s6, 17
	v_writelane_b32 v251, s7, 18
	s_add_nc_u64 s[6:7], s[98:99], s[6:7]
	.loc	1 171 51 is_stmt 0              ; attention_bwd.py:171:51
	s_wait_alu depctr_sa_sdst(0)
	v_add_co_u32 v19, vcc_lo, s6, v245
	.loc	1 171 38                        ; attention_bwd.py:171:38
	s_mul_i32 s6, s18, s2
	.loc	1 171 51                        ; attention_bwd.py:171:51
	s_wait_alu depctr_va_vcc(0)
	v_add_co_ci_u32_e64 v20, null, s7, v246, vcc_lo
	.loc	1 171 20                        ; attention_bwd.py:171:20
	s_wait_alu depctr_sa_sdst(0)
	s_ashr_i32 s7, s6, 31
	.loc	1 165 23 is_stmt 1              ; attention_bwd.py:165:23
	s_or_b32 s2, s52, 0x48
	.loc	1 171 20                        ; attention_bwd.py:171:20
	s_wait_alu depctr_sa_sdst(0)
	s_lshl_b64 s[56:57], s[6:7], 1
	s_delay_alu instid0(SALU_CYCLE_1)
	s_add_nc_u64 s[6:7], s[98:99], s[56:57]
	.loc	1 171 51 is_stmt 0              ; attention_bwd.py:171:51
	s_wait_alu depctr_sa_sdst(0)
	v_add_co_u32 v7, vcc_lo, s6, v245
	.loc	1 171 38                        ; attention_bwd.py:171:38
	s_mul_i32 s6, s18, s2
	.loc	1 171 51                        ; attention_bwd.py:171:51
	s_wait_alu depctr_va_vcc(0)
	v_add_co_ci_u32_e64 v8, null, s7, v246, vcc_lo
	.loc	1 171 20                        ; attention_bwd.py:171:20
	s_wait_alu depctr_sa_sdst(0)
	s_ashr_i32 s7, s6, 31
	.loc	1 165 23 is_stmt 1              ; attention_bwd.py:165:23
	s_or_b32 s2, s52, 0x4a
	.loc	1 171 20                        ; attention_bwd.py:171:20
	s_wait_alu depctr_sa_sdst(0)
	s_lshl_b64 s[6:7], s[6:7], 1
	s_wait_alu depctr_sa_sdst(0)
	v_writelane_b32 v251, s6, 19
	v_writelane_b32 v251, s7, 20
	s_add_nc_u64 s[6:7], s[98:99], s[6:7]
	.loc	1 171 51 is_stmt 0              ; attention_bwd.py:171:51
	s_wait_alu depctr_sa_sdst(0)
	v_add_co_u32 v157, vcc_lo, s6, v245
	.loc	1 171 38                        ; attention_bwd.py:171:38
	s_mul_i32 s6, s18, s2
	.loc	1 171 51                        ; attention_bwd.py:171:51
	s_wait_alu depctr_va_vcc(0)
	v_add_co_ci_u32_e64 v158, null, s7, v246, vcc_lo
	.loc	1 171 20                        ; attention_bwd.py:171:20
	s_wait_alu depctr_sa_sdst(0)
	s_ashr_i32 s7, s6, 31
	.loc	1 165 23 is_stmt 1              ; attention_bwd.py:165:23
	s_or_b32 s2, s52, 0x4c
	.loc	1 171 20                        ; attention_bwd.py:171:20
	s_wait_alu depctr_sa_sdst(0)
	s_lshl_b64 s[6:7], s[6:7], 1
	.loc	1 171 16 is_stmt 0              ; attention_bwd.py:171:16
	s_clause 0x1
	global_load_u16 v138, v[143:144], off
	global_load_u16 v143, v[157:158], off
	.loc	1 171 20                        ; attention_bwd.py:171:20
	s_wait_alu depctr_sa_sdst(0)
	v_writelane_b32 v251, s6, 21
	v_writelane_b32 v251, s7, 22
	s_add_nc_u64 s[6:7], s[98:99], s[6:7]
	.loc	1 171 51                        ; attention_bwd.py:171:51
	s_wait_alu depctr_sa_sdst(0)
	v_add_co_u32 v53, vcc_lo, s6, v245
	.loc	1 171 38                        ; attention_bwd.py:171:38
	s_mul_i32 s6, s18, s2
	.loc	1 171 51                        ; attention_bwd.py:171:51
	s_wait_alu depctr_va_vcc(0)
	v_add_co_ci_u32_e64 v54, null, s7, v246, vcc_lo
	.loc	1 171 20                        ; attention_bwd.py:171:20
	s_wait_alu depctr_sa_sdst(0)
	s_ashr_i32 s7, s6, 31
	.loc	1 165 23 is_stmt 1              ; attention_bwd.py:165:23
	s_or_b32 s2, s52, 0x4e
	.loc	1 171 20                        ; attention_bwd.py:171:20
	s_wait_alu depctr_sa_sdst(0)
	s_lshl_b64 s[62:63], s[6:7], 1
	.loc	1 171 16 is_stmt 0              ; attention_bwd.py:171:16
	s_clause 0x1
	global_load_u16 v229, v[45:46], off
	global_load_u16 v53, v[53:54], off
	.loc	1 171 20                        ; attention_bwd.py:171:20
	s_add_nc_u64 s[6:7], s[98:99], s[62:63]
	.loc	1 171 51                        ; attention_bwd.py:171:51
	s_wait_alu depctr_sa_sdst(0)
	v_add_co_u32 v47, vcc_lo, s6, v245
	.loc	1 171 38                        ; attention_bwd.py:171:38
	s_mul_i32 s6, s18, s2
	.loc	1 171 51                        ; attention_bwd.py:171:51
	s_wait_alu depctr_va_vcc(0)
	v_add_co_ci_u32_e64 v48, null, s7, v246, vcc_lo
	.loc	1 171 20                        ; attention_bwd.py:171:20
	s_wait_alu depctr_sa_sdst(0)
	s_ashr_i32 s7, s6, 31
	.loc	1 165 23 is_stmt 1              ; attention_bwd.py:165:23
	s_or_b32 s2, s52, 0x50
	.loc	1 171 20                        ; attention_bwd.py:171:20
	s_wait_alu depctr_sa_sdst(0)
	s_lshl_b64 s[6:7], s[6:7], 1
	s_wait_alu depctr_sa_sdst(0)
	v_writelane_b32 v251, s6, 23
	v_writelane_b32 v251, s7, 24
	s_add_nc_u64 s[6:7], s[98:99], s[6:7]
	.loc	1 171 51 is_stmt 0              ; attention_bwd.py:171:51
	s_wait_alu depctr_sa_sdst(0)
	v_add_co_u32 v43, vcc_lo, s6, v245
	.loc	1 171 38                        ; attention_bwd.py:171:38
	s_mul_i32 s6, s18, s2
	.loc	1 171 51                        ; attention_bwd.py:171:51
	s_wait_alu depctr_va_vcc(0)
	v_add_co_ci_u32_e64 v44, null, s7, v246, vcc_lo
	.loc	1 171 20                        ; attention_bwd.py:171:20
	s_wait_alu depctr_sa_sdst(0)
	s_ashr_i32 s7, s6, 31
	.loc	1 165 23 is_stmt 1              ; attention_bwd.py:165:23
	s_or_b32 s2, s52, 0x52
	.loc	1 171 20                        ; attention_bwd.py:171:20
	s_wait_alu depctr_sa_sdst(0)
	s_lshl_b64 s[68:69], s[6:7], 1
	s_delay_alu instid0(SALU_CYCLE_1)
	s_add_nc_u64 s[6:7], s[98:99], s[68:69]
	.loc	1 171 51 is_stmt 0              ; attention_bwd.py:171:51
	s_wait_alu depctr_sa_sdst(0)
	v_add_co_u32 v161, vcc_lo, s6, v245
	.loc	1 171 38                        ; attention_bwd.py:171:38
	s_mul_i32 s6, s18, s2
	.loc	1 171 51                        ; attention_bwd.py:171:51
	s_wait_alu depctr_va_vcc(0)
	v_add_co_ci_u32_e64 v162, null, s7, v246, vcc_lo
	.loc	1 171 20                        ; attention_bwd.py:171:20
	s_wait_alu depctr_sa_sdst(0)
	s_ashr_i32 s7, s6, 31
	.loc	1 165 23 is_stmt 1              ; attention_bwd.py:165:23
	s_or_b32 s2, s52, 0x54
	.loc	1 171 20                        ; attention_bwd.py:171:20
	s_wait_alu depctr_sa_sdst(0)
	s_lshl_b64 s[80:81], s[6:7], 1
	s_delay_alu instid0(SALU_CYCLE_1)
	s_add_nc_u64 s[6:7], s[98:99], s[80:81]
	.loc	1 171 51 is_stmt 0              ; attention_bwd.py:171:51
	s_wait_alu depctr_sa_sdst(0)
	v_add_co_u32 v63, vcc_lo, s6, v245
	.loc	1 171 38                        ; attention_bwd.py:171:38
	s_mul_i32 s6, s18, s2
	.loc	1 171 51                        ; attention_bwd.py:171:51
	s_wait_alu depctr_va_vcc(0)
	v_add_co_ci_u32_e64 v64, null, s7, v246, vcc_lo
	.loc	1 171 20                        ; attention_bwd.py:171:20
	s_wait_alu depctr_sa_sdst(0)
	s_ashr_i32 s7, s6, 31
	.loc	1 165 23 is_stmt 1              ; attention_bwd.py:165:23
	s_or_b32 s2, s52, 0x56
	.loc	1 171 20                        ; attention_bwd.py:171:20
	s_wait_alu depctr_sa_sdst(0)
	s_lshl_b64 s[6:7], s[6:7], 1
	s_wait_alu depctr_sa_sdst(0)
	v_writelane_b32 v251, s6, 25
	v_writelane_b32 v251, s7, 26
	s_add_nc_u64 s[6:7], s[98:99], s[6:7]
	.loc	1 171 51 is_stmt 0              ; attention_bwd.py:171:51
	s_wait_alu depctr_sa_sdst(0)
	v_add_co_u32 v49, vcc_lo, s6, v245
	.loc	1 171 38                        ; attention_bwd.py:171:38
	s_mul_i32 s6, s18, s2
	.loc	1 171 51                        ; attention_bwd.py:171:51
	s_wait_alu depctr_va_vcc(0)
	v_add_co_ci_u32_e64 v50, null, s7, v246, vcc_lo
	.loc	1 171 20                        ; attention_bwd.py:171:20
	s_wait_alu depctr_sa_sdst(0)
	s_ashr_i32 s7, s6, 31
	.loc	1 165 23 is_stmt 1              ; attention_bwd.py:165:23
	s_or_b32 s2, s52, 0x58
	.loc	1 171 20                        ; attention_bwd.py:171:20
	s_wait_alu depctr_sa_sdst(0)
	s_lshl_b64 s[90:91], s[6:7], 1
	s_delay_alu instid0(SALU_CYCLE_1)
	s_add_nc_u64 s[6:7], s[98:99], s[90:91]
	v_writelane_b32 v252, s90, 0
	.loc	1 171 51 is_stmt 0              ; attention_bwd.py:171:51
	s_wait_alu depctr_sa_sdst(0)
	v_add_co_u32 v31, vcc_lo, s6, v245
	.loc	1 171 38                        ; attention_bwd.py:171:38
	s_mul_i32 s6, s18, s2
	.loc	1 171 51                        ; attention_bwd.py:171:51
	s_wait_alu depctr_va_vcc(0)
	v_add_co_ci_u32_e64 v32, null, s7, v246, vcc_lo
	.loc	1 171 20                        ; attention_bwd.py:171:20
	s_wait_alu depctr_sa_sdst(0)
	s_ashr_i32 s7, s6, 31
	.loc	1 165 23 is_stmt 1              ; attention_bwd.py:165:23
	s_or_b32 s2, s52, 0x5a
	.loc	1 171 20                        ; attention_bwd.py:171:20
	s_wait_alu depctr_sa_sdst(0)
	s_lshl_b64 s[6:7], s[6:7], 1
	v_writelane_b32 v252, s91, 1
	s_wait_alu depctr_sa_sdst(0)
	v_writelane_b32 v251, s6, 27
	v_writelane_b32 v251, s7, 28
	s_add_nc_u64 s[6:7], s[98:99], s[6:7]
	.loc	1 171 51 is_stmt 0              ; attention_bwd.py:171:51
	s_wait_alu depctr_sa_sdst(0)
	v_add_co_u32 v165, vcc_lo, s6, v245
	.loc	1 171 38                        ; attention_bwd.py:171:38
	s_mul_i32 s6, s18, s2
	.loc	1 171 51                        ; attention_bwd.py:171:51
	s_wait_alu depctr_va_vcc(0)
	v_add_co_ci_u32_e64 v166, null, s7, v246, vcc_lo
	.loc	1 171 20                        ; attention_bwd.py:171:20
	s_wait_alu depctr_sa_sdst(0)
	s_ashr_i32 s7, s6, 31
	.loc	1 165 23 is_stmt 1              ; attention_bwd.py:165:23
	s_or_b32 s2, s52, 0x5c
	.loc	1 171 20                        ; attention_bwd.py:171:20
	s_wait_alu depctr_sa_sdst(0)
	s_lshl_b64 s[6:7], s[6:7], 1
	.loc	1 171 16 is_stmt 0              ; attention_bwd.py:171:16
	s_clause 0x1
	global_load_u16 v144, v[161:162], off
	global_load_u16 v157, v[165:166], off
	.loc	1 171 20                        ; attention_bwd.py:171:20
	s_wait_alu depctr_sa_sdst(0)
	v_writelane_b32 v251, s6, 29
	v_writelane_b32 v251, s7, 30
	s_add_nc_u64 s[6:7], s[98:99], s[6:7]
	.loc	1 171 51                        ; attention_bwd.py:171:51
	s_wait_alu depctr_sa_sdst(0)
	v_add_co_u32 v85, vcc_lo, s6, v245
	.loc	1 171 38                        ; attention_bwd.py:171:38
	s_mul_i32 s6, s18, s2
	.loc	1 171 51                        ; attention_bwd.py:171:51
	s_wait_alu depctr_va_vcc(0)
	v_add_co_ci_u32_e64 v86, null, s7, v246, vcc_lo
	.loc	1 171 20                        ; attention_bwd.py:171:20
	s_wait_alu depctr_sa_sdst(0)
	s_ashr_i32 s7, s6, 31
	.loc	1 165 23 is_stmt 1              ; attention_bwd.py:165:23
	s_or_b32 s2, s52, 0x5e
	.loc	1 171 20                        ; attention_bwd.py:171:20
	s_wait_alu depctr_sa_sdst(0)
	s_lshl_b64 s[6:7], s[6:7], 1
	.loc	1 171 16 is_stmt 0              ; attention_bwd.py:171:16
	s_clause 0x1
	global_load_u16 v54, v[63:64], off
	global_load_u16 v63, v[85:86], off
	.loc	1 171 20                        ; attention_bwd.py:171:20
	s_wait_alu depctr_sa_sdst(0)
	v_writelane_b32 v251, s6, 31
	v_writelane_b32 v254, s7, 0
	s_add_nc_u64 s[6:7], s[98:99], s[6:7]
	.loc	1 171 51                        ; attention_bwd.py:171:51
	s_wait_alu depctr_sa_sdst(0)
	v_add_co_u32 v57, vcc_lo, s6, v245
	.loc	1 171 38                        ; attention_bwd.py:171:38
	s_mul_i32 s6, s18, s2
	.loc	1 171 51                        ; attention_bwd.py:171:51
	s_wait_alu depctr_va_vcc(0)
	v_add_co_ci_u32_e64 v58, null, s7, v246, vcc_lo
	.loc	1 171 20                        ; attention_bwd.py:171:20
	s_wait_alu depctr_sa_sdst(0)
	s_ashr_i32 s7, s6, 31
	.loc	1 165 23 is_stmt 1              ; attention_bwd.py:165:23
	s_or_b32 s2, s52, 0x60
	.loc	1 171 20                        ; attention_bwd.py:171:20
	s_wait_alu depctr_sa_sdst(0)
	s_lshl_b64 s[6:7], s[6:7], 1
	s_wait_alu depctr_sa_sdst(0)
	v_writelane_b32 v254, s6, 1
	v_writelane_b32 v254, s7, 2
	s_add_nc_u64 s[6:7], s[98:99], s[6:7]
	.loc	1 171 51 is_stmt 0              ; attention_bwd.py:171:51
	s_wait_alu depctr_sa_sdst(0)
	v_add_co_u32 v51, vcc_lo, s6, v245
	.loc	1 171 38                        ; attention_bwd.py:171:38
	s_mul_i32 s6, s18, s2
	.loc	1 171 51                        ; attention_bwd.py:171:51
	s_wait_alu depctr_va_vcc(0)
	v_add_co_ci_u32_e64 v52, null, s7, v246, vcc_lo
	.loc	1 171 20                        ; attention_bwd.py:171:20
	s_wait_alu depctr_sa_sdst(0)
	s_ashr_i32 s7, s6, 31
	.loc	1 165 23 is_stmt 1              ; attention_bwd.py:165:23
	s_or_b32 s2, s52, 0x62
	.loc	1 171 20                        ; attention_bwd.py:171:20
	s_wait_alu depctr_sa_sdst(0)
	s_lshl_b64 s[6:7], s[6:7], 1
	.loc	1 171 16 is_stmt 0              ; attention_bwd.py:171:16
	s_clause 0x1
	global_load_u16 v51, v[51:52], off
	global_load_u16 v52, v[31:32], off
	.loc	1 171 20                        ; attention_bwd.py:171:20
	s_wait_alu depctr_sa_sdst(0)
	v_writelane_b32 v254, s6, 3
	v_writelane_b32 v254, s7, 4
	s_add_nc_u64 s[6:7], s[98:99], s[6:7]
	.loc	1 171 51                        ; attention_bwd.py:171:51
	s_wait_alu depctr_sa_sdst(0)
	v_add_co_u32 v169, vcc_lo, s6, v245
	.loc	1 171 38                        ; attention_bwd.py:171:38
	s_mul_i32 s6, s18, s2
	.loc	1 171 51                        ; attention_bwd.py:171:51
	s_wait_alu depctr_va_vcc(0)
	v_add_co_ci_u32_e64 v170, null, s7, v246, vcc_lo
	.loc	1 171 20                        ; attention_bwd.py:171:20
	s_wait_alu depctr_sa_sdst(0)
	s_ashr_i32 s7, s6, 31
	.loc	1 165 23 is_stmt 1              ; attention_bwd.py:165:23
	s_or_b32 s2, s52, 0x64
	.loc	1 171 20                        ; attention_bwd.py:171:20
	s_wait_alu depctr_sa_sdst(0)
	s_lshl_b64 s[6:7], s[6:7], 1
	s_wait_alu depctr_sa_sdst(0)
	v_writelane_b32 v254, s6, 5
	v_writelane_b32 v254, s7, 6
	s_add_nc_u64 s[6:7], s[98:99], s[6:7]
	.loc	1 171 51 is_stmt 0              ; attention_bwd.py:171:51
	s_wait_alu depctr_sa_sdst(0)
	v_add_co_u32 v111, vcc_lo, s6, v245
	.loc	1 171 38                        ; attention_bwd.py:171:38
	s_mul_i32 s6, s18, s2
	.loc	1 171 51                        ; attention_bwd.py:171:51
	s_wait_alu depctr_va_vcc(0)
	v_add_co_ci_u32_e64 v112, null, s7, v246, vcc_lo
	.loc	1 171 20                        ; attention_bwd.py:171:20
	s_wait_alu depctr_sa_sdst(0)
	s_ashr_i32 s7, s6, 31
	.loc	1 165 23 is_stmt 1              ; attention_bwd.py:165:23
	s_or_b32 s2, s52, 0x66
	.loc	1 171 20                        ; attention_bwd.py:171:20
	s_wait_alu depctr_sa_sdst(0)
	s_lshl_b64 s[6:7], s[6:7], 1
	s_wait_alu depctr_sa_sdst(0)
	v_writelane_b32 v254, s6, 7
	v_writelane_b32 v254, s7, 8
	s_add_nc_u64 s[6:7], s[98:99], s[6:7]
	.loc	1 171 51 is_stmt 0              ; attention_bwd.py:171:51
	;; [unrolled: 20-line block ×4, first 2 shown]
	s_wait_alu depctr_sa_sdst(0)
	v_add_co_u32 v171, vcc_lo, s6, v245
	.loc	1 171 38                        ; attention_bwd.py:171:38
	s_mul_i32 s6, s18, s2
	.loc	1 171 51                        ; attention_bwd.py:171:51
	s_wait_alu depctr_va_vcc(0)
	v_add_co_ci_u32_e64 v172, null, s7, v246, vcc_lo
	.loc	1 171 20                        ; attention_bwd.py:171:20
	s_wait_alu depctr_sa_sdst(0)
	s_ashr_i32 s7, s6, 31
	.loc	1 165 23 is_stmt 1              ; attention_bwd.py:165:23
	s_or_b32 s2, s52, 0x6c
	.loc	1 171 20                        ; attention_bwd.py:171:20
	s_wait_alu depctr_sa_sdst(0)
	s_lshl_b64 s[6:7], s[6:7], 1
	.loc	1 171 16 is_stmt 0              ; attention_bwd.py:171:16
	s_clause 0x1
	global_load_u16 v158, v[169:170], off
	global_load_u16 v161, v[171:172], off
	.loc	1 171 20                        ; attention_bwd.py:171:20
	s_wait_alu depctr_sa_sdst(0)
	v_writelane_b32 v254, s6, 13
	.loc	1 171 16                        ; attention_bwd.py:171:16
	s_clause 0x3
	global_load_u16 v166, v[21:22], off
	global_load_u16 v169, v[5:6], off
	;; [unrolled: 1-line block ×4, first 2 shown]
	.loc	1 171 20                        ; attention_bwd.py:171:20
	v_writelane_b32 v254, s7, 14
	s_add_nc_u64 s[6:7], s[98:99], s[6:7]
	.loc	1 171 51                        ; attention_bwd.py:171:51
	s_wait_alu depctr_sa_sdst(0)
	v_add_co_u32 v149, vcc_lo, s6, v245
	.loc	1 171 38                        ; attention_bwd.py:171:38
	s_mul_i32 s6, s18, s2
	.loc	1 171 51                        ; attention_bwd.py:171:51
	s_wait_alu depctr_va_vcc(0)
	v_add_co_ci_u32_e64 v150, null, s7, v246, vcc_lo
	.loc	1 171 20                        ; attention_bwd.py:171:20
	s_wait_alu depctr_sa_sdst(0)
	s_ashr_i32 s7, s6, 31
	.loc	1 165 23 is_stmt 1              ; attention_bwd.py:165:23
	s_or_b32 s2, s52, 0x6e
	.loc	1 171 20                        ; attention_bwd.py:171:20
	s_wait_alu depctr_sa_sdst(0)
	s_lshl_b64 s[6:7], s[6:7], 1
	.loc	1 171 16 is_stmt 0              ; attention_bwd.py:171:16
	s_clause 0x1
	global_load_u16 v64, v[111:112], off
	global_load_u16 v85, v[149:150], off
	.loc	1 171 20                        ; attention_bwd.py:171:20
	s_wait_alu depctr_sa_sdst(0)
	v_writelane_b32 v254, s6, 15
	.loc	1 171 16                        ; attention_bwd.py:171:16
	s_clause 0x1
	global_load_u16 v112, v[19:20], off
	global_load_u16 v149, v[47:48], off
	.loc	1 171 20                        ; attention_bwd.py:171:20
	v_writelane_b32 v254, s7, 16
	s_add_nc_u64 s[6:7], s[98:99], s[6:7]
	.loc	1 171 51                        ; attention_bwd.py:171:51
	s_wait_alu depctr_sa_sdst(0)
	v_add_co_u32 v101, vcc_lo, s6, v245
	.loc	1 171 38                        ; attention_bwd.py:171:38
	s_mul_i32 s6, s18, s2
	.loc	1 171 51                        ; attention_bwd.py:171:51
	s_wait_alu depctr_va_vcc(0)
	v_add_co_ci_u32_e64 v102, null, s7, v246, vcc_lo
	.loc	1 171 20                        ; attention_bwd.py:171:20
	s_wait_alu depctr_sa_sdst(0)
	s_ashr_i32 s7, s6, 31
	.loc	1 165 23 is_stmt 1              ; attention_bwd.py:165:23
	s_or_b32 s2, s52, 0x70
	.loc	1 171 20                        ; attention_bwd.py:171:20
	s_wait_alu depctr_sa_sdst(0)
	s_lshl_b64 s[6:7], s[6:7], 1
	s_wait_alu depctr_sa_sdst(0)
	v_writelane_b32 v254, s6, 17
	v_writelane_b32 v254, s7, 18
	s_add_nc_u64 s[6:7], s[98:99], s[6:7]
	.loc	1 171 51 is_stmt 0              ; attention_bwd.py:171:51
	s_wait_alu depctr_sa_sdst(0)
	v_add_co_u32 v77, vcc_lo, s6, v245
	.loc	1 171 38                        ; attention_bwd.py:171:38
	s_mul_i32 s6, s18, s2
	.loc	1 171 51                        ; attention_bwd.py:171:51
	s_wait_alu depctr_va_vcc(0)
	v_add_co_ci_u32_e64 v78, null, s7, v246, vcc_lo
	.loc	1 171 20                        ; attention_bwd.py:171:20
	s_wait_alu depctr_sa_sdst(0)
	s_ashr_i32 s7, s6, 31
	.loc	1 165 23 is_stmt 1              ; attention_bwd.py:165:23
	s_or_b32 s2, s52, 0x72
	.loc	1 171 20                        ; attention_bwd.py:171:20
	s_wait_alu depctr_sa_sdst(0)
	s_lshl_b64 s[6:7], s[6:7], 1
	.loc	1 171 16 is_stmt 0              ; attention_bwd.py:171:16
	s_clause 0x1
	global_load_u16 v77, v[77:78], off
	global_load_u16 v55, v[55:56], off
	.loc	1 171 20                        ; attention_bwd.py:171:20
	s_wait_alu depctr_sa_sdst(0)
	v_writelane_b32 v254, s6, 19
	v_writelane_b32 v254, s7, 20
	s_add_nc_u64 s[6:7], s[98:99], s[6:7]
	.loc	1 171 51                        ; attention_bwd.py:171:51
	s_wait_alu depctr_sa_sdst(0)
	v_add_co_u32 v173, vcc_lo, s6, v245
	.loc	1 171 38                        ; attention_bwd.py:171:38
	s_mul_i32 s6, s18, s2
	.loc	1 171 51                        ; attention_bwd.py:171:51
	s_wait_alu depctr_va_vcc(0)
	v_add_co_ci_u32_e64 v174, null, s7, v246, vcc_lo
	.loc	1 171 20                        ; attention_bwd.py:171:20
	s_wait_alu depctr_sa_sdst(0)
	s_ashr_i32 s7, s6, 31
	.loc	1 165 23 is_stmt 1              ; attention_bwd.py:165:23
	s_or_b32 s2, s52, 0x74
	.loc	1 171 20                        ; attention_bwd.py:171:20
	s_wait_alu depctr_sa_sdst(0)
	s_lshl_b64 s[6:7], s[6:7], 1
	s_wait_alu depctr_sa_sdst(0)
	v_writelane_b32 v254, s6, 21
	v_writelane_b32 v254, s7, 22
	s_add_nc_u64 s[6:7], s[98:99], s[6:7]
	.loc	1 171 51 is_stmt 0              ; attention_bwd.py:171:51
	s_wait_alu depctr_sa_sdst(0)
	v_add_co_u32 v163, vcc_lo, s6, v245
	.loc	1 171 38                        ; attention_bwd.py:171:38
	s_mul_i32 s6, s18, s2
	.loc	1 171 51                        ; attention_bwd.py:171:51
	s_wait_alu depctr_va_vcc(0)
	v_add_co_ci_u32_e64 v164, null, s7, v246, vcc_lo
	.loc	1 171 20                        ; attention_bwd.py:171:20
	s_wait_alu depctr_sa_sdst(0)
	s_ashr_i32 s7, s6, 31
	.loc	1 165 23 is_stmt 1              ; attention_bwd.py:165:23
	s_or_b32 s2, s52, 0x76
	.loc	1 171 20                        ; attention_bwd.py:171:20
	s_wait_alu depctr_sa_sdst(0)
	s_lshl_b64 s[6:7], s[6:7], 1
	s_wait_alu depctr_sa_sdst(0)
	v_writelane_b32 v254, s6, 23
	v_writelane_b32 v254, s7, 24
	s_add_nc_u64 s[6:7], s[98:99], s[6:7]
	.loc	1 171 51 is_stmt 0              ; attention_bwd.py:171:51
	;; [unrolled: 20-line block ×4, first 2 shown]
	s_wait_alu depctr_sa_sdst(0)
	v_add_co_u32 v175, vcc_lo, s6, v245
	.loc	1 171 38                        ; attention_bwd.py:171:38
	s_mul_i32 s6, s18, s2
	.loc	1 171 51                        ; attention_bwd.py:171:51
	s_wait_alu depctr_va_vcc(0)
	v_add_co_ci_u32_e64 v176, null, s7, v246, vcc_lo
	.loc	1 171 20                        ; attention_bwd.py:171:20
	s_wait_alu depctr_sa_sdst(0)
	s_ashr_i32 s7, s6, 31
	.loc	1 165 23 is_stmt 1              ; attention_bwd.py:165:23
	s_or_b32 s2, s52, 0x7c
	.loc	1 171 20                        ; attention_bwd.py:171:20
	s_wait_alu depctr_sa_sdst(0)
	s_lshl_b64 s[6:7], s[6:7], 1
	.loc	1 171 16 is_stmt 0              ; attention_bwd.py:171:16
	s_clause 0x1
	global_load_u16 v162, v[173:174], off
	global_load_u16 v165, v[175:176], off
	.loc	1 171 20                        ; attention_bwd.py:171:20
	s_wait_alu depctr_sa_sdst(0)
	v_writelane_b32 v254, s6, 29
	.loc	1 171 16                        ; attention_bwd.py:171:16
	s_clause 0x5
	global_load_u16 v172, v[11:12], off
	global_load_u16 v173, v[1:2], off
	;; [unrolled: 1-line block ×6, first 2 shown]
	.loc	1 171 20                        ; attention_bwd.py:171:20
	v_writelane_b32 v254, s7, 30
	s_add_nc_u64 s[6:7], s[98:99], s[6:7]
	.loc	1 171 51                        ; attention_bwd.py:171:51
	s_wait_alu depctr_sa_sdst(0)
	v_add_co_u32 v167, vcc_lo, s6, v245
	.loc	1 171 38                        ; attention_bwd.py:171:38
	s_mul_i32 s6, s18, s2
	.loc	1 171 51                        ; attention_bwd.py:171:51
	s_wait_alu depctr_va_vcc(0)
	v_add_co_ci_u32_e64 v168, null, s7, v246, vcc_lo
	.loc	1 171 20                        ; attention_bwd.py:171:20
	s_wait_alu depctr_sa_sdst(0)
	s_ashr_i32 s7, s6, 31
	.loc	1 165 23 is_stmt 1              ; attention_bwd.py:165:23
	s_or_b32 s2, s52, 0x7e
	.loc	1 171 20                        ; attention_bwd.py:171:20
	s_wait_alu depctr_sa_sdst(0)
	s_lshl_b64 s[6:7], s[6:7], 1
	.loc	1 171 16 is_stmt 0              ; attention_bwd.py:171:16
	s_clause 0x1
	global_load_u16 v86, v[163:164], off
	global_load_u16 v111, v[167:168], off
	.loc	1 171 20                        ; attention_bwd.py:171:20
	s_wait_alu depctr_sa_sdst(0)
	v_writelane_b32 v254, s6, 31
	v_writelane_b32 v253, s7, 0
	s_add_nc_u64 s[6:7], s[98:99], s[6:7]
	.loc	1 171 16                        ; attention_bwd.py:171:16
	s_clause 0x1
	global_load_u16 v150, v[43:44], off
	global_load_u16 v163, v[7:8], off
	.loc	1 171 51                        ; attention_bwd.py:171:51
	s_wait_alu depctr_sa_sdst(0)
	v_add_co_u32 v159, vcc_lo, s6, v245
	.loc	1 171 38                        ; attention_bwd.py:171:38
	s_mul_i32 s6, s18, s2
	.loc	1 171 51                        ; attention_bwd.py:171:51
	s_wait_alu depctr_va_vcc(0)
	v_add_co_ci_u32_e64 v160, null, s7, v246, vcc_lo
	.loc	1 171 20                        ; attention_bwd.py:171:20
	s_wait_alu depctr_sa_sdst(0)
	s_ashr_i32 s7, s6, 31
	.loc	1 171 16                        ; attention_bwd.py:171:16
	s_clause 0x1
	global_load_u16 v164, v[49:50], off
	global_load_u16 v57, v[57:58], off
	.loc	1 171 20                        ; attention_bwd.py:171:20
	s_wait_alu depctr_sa_sdst(0)
	s_lshl_b64 s[6:7], s[6:7], 1
	.loc	1 171 16                        ; attention_bwd.py:171:16
	s_clause 0x1
	global_load_u16 v58, v[69:70], off
	global_load_u16 v69, v[101:102], off
	.loc	1 171 20                        ; attention_bwd.py:171:20
	s_wait_alu depctr_sa_sdst(0)
	v_writelane_b32 v253, s6, 1
	.loc	1 171 16                        ; attention_bwd.py:171:16
	s_clause 0x1
	global_load_u16 v70, v[139:140], off
	global_load_u16 v101, v[159:160], off
	.loc	1 165 36 is_stmt 1              ; attention_bwd.py:165:36
	s_bfe_i32 s2, s33, 0x10001
.Ltmp12:
	.loc	1 47 25                         ; attention_bwd.py:47:25 @[ attention_bwd.py:184:50 ]
	s_or_b32 s33, s52, 6
.Ltmp13:
	.loc	1 171 16                        ; attention_bwd.py:171:16
	s_and_b32 s2, s2, 0x90
	.loc	1 171 20 is_stmt 0              ; attention_bwd.py:171:20
	v_writelane_b32 v253, s7, 2
	s_add_nc_u64 s[6:7], s[98:99], s[6:7]
	.loc	1 171 51                        ; attention_bwd.py:171:51
	s_wait_alu depctr_sa_sdst(0)
	v_add_co_u32 v145, vcc_lo, s6, v245
	s_wait_kmcnt 0x0
	v_writelane_b32 v253, s28, 3
	.loc	1 150 9 is_stmt 1               ; attention_bwd.py:150:9
	s_add_nc_u64 s[34:35], s[28:29], s[16:17]
	.loc	1 171 51                        ; attention_bwd.py:171:51
	s_wait_alu depctr_va_vcc(0)
	v_add_co_ci_u32_e64 v146, null, s7, v246, vcc_lo
	.loc	1 172 20                        ; attention_bwd.py:172:20
	s_wait_alu depctr_sa_sdst(0)
	s_add_nc_u64 s[6:7], s[34:35], s[0:1]
	v_writelane_b32 v253, s29, 4
	.loc	1 172 51 is_stmt 0              ; attention_bwd.py:172:51
	s_wait_alu depctr_sa_sdst(0)
	v_add_co_u32 v59, vcc_lo, s6, v245
	s_wait_alu depctr_va_vcc(0)
	v_add_co_ci_u32_e64 v60, null, s7, v246, vcc_lo
	v_writelane_b32 v253, s30, 5
	.loc	1 172 20                        ; attention_bwd.py:172:20
	s_add_nc_u64 s[6:7], s[34:35], s[4:5]
	.loc	1 171 16 is_stmt 1              ; attention_bwd.py:171:16
	s_clause 0x1
	global_load_u16 v56, v[145:146], off
	global_load_u16 v78, v[97:98], off
	.loc	1 172 51                        ; attention_bwd.py:172:51
	s_wait_alu depctr_sa_sdst(0)
	v_add_co_u32 v65, vcc_lo, s6, v245
	v_writelane_b32 v253, s92, 6
	s_wait_alu depctr_va_vcc(0)
	v_add_co_ci_u32_e64 v66, null, s7, v246, vcc_lo
	.loc	1 172 20 is_stmt 0              ; attention_bwd.py:172:20
	s_add_nc_u64 s[6:7], s[34:35], s[96:97]
	.loc	1 165 36 is_stmt 1              ; attention_bwd.py:165:36
	s_and_b32 s28, vcc_hi, 0x60
	v_writelane_b32 v253, s93, 7
	.loc	1 172 51                        ; attention_bwd.py:172:51
	s_wait_alu depctr_sa_sdst(0)
	v_add_co_u32 v67, vcc_lo, s6, v245
	s_wait_alu depctr_va_vcc(0)
	v_add_co_ci_u32_e64 v68, null, s7, v246, vcc_lo
	v_writelane_b32 v253, s94, 8
	.loc	1 172 20 is_stmt 0              ; attention_bwd.py:172:20
	s_add_nc_u64 s[6:7], s[34:35], s[24:25]
.Ltmp14:
	.loc	1 47 25 is_stmt 1               ; attention_bwd.py:47:25 @[ attention_bwd.py:184:50 ]
	s_or_b32 s29, s52, 8
.Ltmp15:
	.loc	1 172 51                        ; attention_bwd.py:172:51
	s_wait_alu depctr_sa_sdst(0)
	v_add_co_u32 v61, vcc_lo, s6, v245
	v_writelane_b32 v253, s95, 9
	s_wait_alu depctr_va_vcc(0)
	v_add_co_ci_u32_e64 v62, null, s7, v246, vcc_lo
	.loc	1 172 20 is_stmt 0              ; attention_bwd.py:172:20
	s_add_nc_u64 s[6:7], s[34:35], s[26:27]
	.loc	1 171 38 is_stmt 1              ; attention_bwd.py:171:38
	scratch_store_b32 off, v91, off offset:256 ; 4-byte Folded Spill
	v_writelane_b32 v253, s48, 10
	.loc	1 172 51                        ; attention_bwd.py:172:51
	s_wait_alu depctr_sa_sdst(0)
	v_add_co_u32 v71, vcc_lo, s6, v245
	s_wait_alu depctr_va_vcc(0)
	v_add_co_ci_u32_e64 v72, null, s7, v246, vcc_lo
	v_writelane_b32 v253, s49, 11
	.loc	1 172 20 is_stmt 0              ; attention_bwd.py:172:20
	s_add_nc_u64 s[6:7], s[34:35], s[66:67]
	scratch_store_b64 off, v[61:62], off    ; 8-byte Folded Spill
	.loc	1 172 51                        ; attention_bwd.py:172:51
	s_wait_alu depctr_sa_sdst(0)
	v_add_co_u32 v73, vcc_lo, s6, v245
	v_writelane_b32 v253, s42, 12
	s_wait_alu depctr_va_vcc(0)
	v_add_co_ci_u32_e64 v74, null, s7, v246, vcc_lo
	.loc	1 172 20                        ; attention_bwd.py:172:20
	s_add_nc_u64 s[6:7], s[34:35], s[64:65]
	v_writelane_b32 v252, s66, 2
	v_writelane_b32 v253, s43, 13
	.loc	1 172 51                        ; attention_bwd.py:172:51
	s_wait_alu depctr_sa_sdst(0)
	v_add_co_u32 v79, vcc_lo, s6, v245
	s_wait_alu depctr_va_vcc(0)
	v_add_co_ci_u32_e64 v80, null, s7, v246, vcc_lo
	v_writelane_b32 v253, s44, 14
	.loc	1 172 20                        ; attention_bwd.py:172:20
	s_add_nc_u64 s[6:7], s[34:35], s[60:61]
	v_writelane_b32 v252, s67, 3
	.loc	1 172 51                        ; attention_bwd.py:172:51
	s_wait_alu depctr_sa_sdst(0)
	v_add_co_u32 v75, vcc_lo, s6, v245
	v_writelane_b32 v253, s45, 15
	s_wait_alu depctr_va_vcc(0)
	v_add_co_ci_u32_e64 v76, null, s7, v246, vcc_lo
	.loc	1 172 20                        ; attention_bwd.py:172:20
	s_add_nc_u64 s[6:7], s[34:35], s[92:93]
	s_mov_b64 s[92:93], s[0:1]
	v_writelane_b32 v253, s46, 16
	.loc	1 172 51                        ; attention_bwd.py:172:51
	s_wait_alu depctr_sa_sdst(0)
	v_add_co_u32 v81, vcc_lo, s6, v245
	s_wait_alu depctr_va_vcc(0)
	v_add_co_ci_u32_e64 v82, null, s7, v246, vcc_lo
	v_writelane_b32 v253, s47, 17
	.loc	1 172 20                        ; attention_bwd.py:172:20
	s_add_nc_u64 s[6:7], s[34:35], s[94:95]
	.loc	1 155 9 is_stmt 1               ; attention_bwd.py:155:9
	v_readlane_b32 s0, v250, 0
	.loc	1 172 51                        ; attention_bwd.py:172:51
	s_wait_alu depctr_sa_sdst(0)
	v_add_co_u32 v61, vcc_lo, s6, v245
	v_writelane_b32 v253, s50, 18
	s_wait_alu depctr_va_vcc(0)
	v_add_co_ci_u32_e64 v62, null, s7, v246, vcc_lo
	.loc	1 172 20 is_stmt 0              ; attention_bwd.py:172:20
	s_add_nc_u64 s[6:7], s[34:35], s[48:49]
	.loc	1 155 9 is_stmt 1               ; attention_bwd.py:155:9
	v_readlane_b32 s1, v250, 1
	v_writelane_b32 v253, s51, 19
	.loc	1 172 51                        ; attention_bwd.py:172:51
	s_wait_alu depctr_sa_sdst(0)
	v_add_co_u32 v87, vcc_lo, s6, v245
	s_wait_alu depctr_va_vcc(0)
	v_add_co_ci_u32_e64 v88, null, s7, v246, vcc_lo
	v_writelane_b32 v253, s70, 20
	.loc	1 172 20 is_stmt 0              ; attention_bwd.py:172:20
	s_add_nc_u64 s[6:7], s[34:35], s[42:43]
	.loc	1 148 9 is_stmt 1               ; attention_bwd.py:148:9
	s_add_nc_u64 s[48:49], s[20:21], s[16:17]
	.loc	1 172 51                        ; attention_bwd.py:172:51
	s_wait_alu depctr_sa_sdst(0)
	v_add_co_u32 v93, vcc_lo, s6, v245
	v_writelane_b32 v253, s71, 21
	s_wait_alu depctr_va_vcc(0)
	v_add_co_ci_u32_e64 v94, null, s7, v246, vcc_lo
	.loc	1 172 20 is_stmt 0              ; attention_bwd.py:172:20
	s_add_nc_u64 s[6:7], s[34:35], s[44:45]
	v_writelane_b32 v252, s64, 4
	v_writelane_b32 v253, s38, 22
	.loc	1 172 51                        ; attention_bwd.py:172:51
	s_wait_alu depctr_sa_sdst(0)
	v_add_co_u32 v103, vcc_lo, s6, v245
	s_wait_alu depctr_va_vcc(0)
	v_add_co_ci_u32_e64 v104, null, s7, v246, vcc_lo
	v_writelane_b32 v253, s39, 23
	.loc	1 172 20                        ; attention_bwd.py:172:20
	s_add_nc_u64 s[6:7], s[34:35], s[100:101]
	v_writelane_b32 v252, s65, 5
	.loc	1 172 51                        ; attention_bwd.py:172:51
	s_wait_alu depctr_sa_sdst(0)
	v_add_co_u32 v109, vcc_lo, s6, v245
	v_writelane_b32 v253, s40, 24
	s_wait_alu depctr_va_vcc(0)
	v_add_co_ci_u32_e64 v110, null, s7, v246, vcc_lo
	.loc	1 172 20                        ; attention_bwd.py:172:20
	s_add_nc_u64 s[6:7], s[34:35], s[46:47]
	v_writelane_b32 v252, s60, 6
	.loc	1 172 51                        ; attention_bwd.py:172:51
	s_wait_alu depctr_sa_sdst(0)
	v_add_co_u32 v113, vcc_lo, s6, v245
	v_writelane_b32 v253, s41, 25
	s_wait_alu depctr_va_vcc(0)
	v_add_co_ci_u32_e64 v114, null, s7, v246, vcc_lo
	.loc	1 172 20                        ; attention_bwd.py:172:20
	s_add_nc_u64 s[6:7], s[34:35], s[50:51]
	v_writelane_b32 v252, s61, 7
	.loc	1 172 51                        ; attention_bwd.py:172:51
	s_wait_alu depctr_sa_sdst(0)
	v_add_co_u32 v119, vcc_lo, s6, v245
	s_wait_alu depctr_va_vcc(0)
	v_add_co_ci_u32_e64 v120, null, s7, v246, vcc_lo
	.loc	1 172 20                        ; attention_bwd.py:172:20
	s_add_nc_u64 s[6:7], s[34:35], s[70:71]
	v_writelane_b32 v253, s72, 26
	.loc	1 172 51                        ; attention_bwd.py:172:51
	s_wait_alu depctr_sa_sdst(0)
	v_add_co_u32 v127, vcc_lo, s6, v245
	s_wait_alu depctr_va_vcc(0)
	v_add_co_ci_u32_e64 v128, null, s7, v246, vcc_lo
	.loc	1 172 20                        ; attention_bwd.py:172:20
	s_add_nc_u64 s[6:7], s[34:35], s[38:39]
	v_writelane_b32 v253, s73, 27
	.loc	1 172 51                        ; attention_bwd.py:172:51
	s_wait_alu depctr_sa_sdst(0)
	v_add_co_u32 v135, vcc_lo, s6, v245
	s_wait_alu depctr_va_vcc(0)
	v_add_co_ci_u32_e64 v136, null, s7, v246, vcc_lo
	.loc	1 172 20                        ; attention_bwd.py:172:20
	s_add_nc_u64 s[6:7], s[34:35], s[40:41]
	v_writelane_b32 v253, s74, 28
	.loc	1 172 51                        ; attention_bwd.py:172:51
	s_wait_alu depctr_sa_sdst(0)
	v_add_co_u32 v141, vcc_lo, s6, v245
	s_wait_alu depctr_va_vcc(0)
	v_add_co_ci_u32_e64 v142, null, s7, v246, vcc_lo
	.loc	1 172 20                        ; attention_bwd.py:172:20
	s_add_nc_u64 s[6:7], s[34:35], s[72:73]
	v_writelane_b32 v253, s75, 29
	.loc	1 172 51                        ; attention_bwd.py:172:51
	s_wait_alu depctr_sa_sdst(0)
	v_add_co_u32 v131, vcc_lo, s6, v245
	s_wait_alu depctr_va_vcc(0)
	v_add_co_ci_u32_e64 v132, null, s7, v246, vcc_lo
	.loc	1 172 20                        ; attention_bwd.py:172:20
	s_add_nc_u64 s[6:7], s[34:35], s[74:75]
	v_writelane_b32 v253, s36, 30
	.loc	1 172 51                        ; attention_bwd.py:172:51
	s_wait_alu depctr_sa_sdst(0)
	v_add_co_u32 v147, vcc_lo, s6, v245
	s_wait_alu depctr_va_vcc(0)
	v_add_co_ci_u32_e64 v148, null, s7, v246, vcc_lo
	.loc	1 172 20                        ; attention_bwd.py:172:20
	s_add_nc_u64 s[6:7], s[34:35], s[36:37]
	v_writelane_b32 v253, s37, 31
	.loc	1 172 51                        ; attention_bwd.py:172:51
	s_wait_alu depctr_sa_sdst(0)
	v_add_co_u32 v243, vcc_lo, s6, v245
	s_wait_alu depctr_va_vcc(0)
	v_add_co_ci_u32_e64 v244, null, s7, v246, vcc_lo
	.loc	1 172 20                        ; attention_bwd.py:172:20
	s_add_nc_u64 s[6:7], s[34:35], s[10:11]
.Ltmp16:
	.loc	1 47 25 is_stmt 1               ; attention_bwd.py:47:25 @[ attention_bwd.py:184:50 ]
	s_or_b32 s10, s52, 14
.Ltmp17:
	.loc	1 172 51                        ; attention_bwd.py:172:51
	s_wait_alu depctr_sa_sdst(0)
	v_add_co_u32 v230, vcc_lo, s6, v245
	s_wait_alu depctr_va_vcc(0)
	v_add_co_ci_u32_e64 v231, null, s7, v246, vcc_lo
	.loc	1 172 20 is_stmt 0              ; attention_bwd.py:172:20
	s_add_nc_u64 s[6:7], s[34:35], s[8:9]
.Ltmp18:
	.loc	1 47 25 is_stmt 1               ; attention_bwd.py:47:25 @[ attention_bwd.py:184:50 ]
	s_lshl_b64 s[8:9], s[58:59], 2
.Ltmp19:
	.loc	1 172 51                        ; attention_bwd.py:172:51
	s_wait_alu depctr_sa_sdst(0)
	v_add_co_u32 v155, vcc_lo, s6, v245
	s_wait_alu depctr_va_vcc(0)
	v_add_co_ci_u32_e64 v156, null, s7, v246, vcc_lo
	.loc	1 172 20 is_stmt 0              ; attention_bwd.py:172:20
	s_add_nc_u64 s[6:7], s[34:35], s[76:77]
.Ltmp20:
	.loc	1 47 25 is_stmt 1               ; attention_bwd.py:47:25 @[ attention_bwd.py:184:50 ]
	s_or_b32 s11, s52, 12
.Ltmp21:
	.loc	1 172 51                        ; attention_bwd.py:172:51
	s_wait_alu depctr_sa_sdst(0)
	v_add_co_u32 v177, vcc_lo, s6, v245
	s_wait_alu depctr_va_vcc(0)
	v_add_co_ci_u32_e64 v178, null, s7, v246, vcc_lo
	.loc	1 172 20 is_stmt 0              ; attention_bwd.py:172:20
	s_add_nc_u64 s[6:7], s[34:35], s[78:79]
.Ltmp22:
	.loc	1 47 25 is_stmt 1               ; attention_bwd.py:47:25 @[ attention_bwd.py:184:50 ]
	s_or_b32 s37, s52, 4
.Ltmp23:
	.loc	1 172 51                        ; attention_bwd.py:172:51
	s_wait_alu depctr_sa_sdst(0)
	v_add_co_u32 v179, vcc_lo, s6, v245
	s_wait_alu depctr_va_vcc(0)
	v_add_co_ci_u32_e64 v180, null, s7, v246, vcc_lo
	.loc	1 172 20 is_stmt 0              ; attention_bwd.py:172:20
	s_add_nc_u64 s[6:7], s[34:35], s[82:83]
.Ltmp24:
	.loc	1 47 25 is_stmt 1               ; attention_bwd.py:47:25 @[ attention_bwd.py:184:50 ]
	s_or_b32 s39, s52, 2
.Ltmp25:
	.loc	1 172 51                        ; attention_bwd.py:172:51
	s_wait_alu depctr_sa_sdst(0)
	v_add_co_u32 v181, vcc_lo, s6, v245
	s_wait_alu depctr_va_vcc(0)
	v_add_co_ci_u32_e64 v182, null, s7, v246, vcc_lo
	.loc	1 155 9                         ; attention_bwd.py:155:9
	s_lshl_b64 s[6:7], s[0:1], 2
.Ltmp26:
	.loc	1 47 25                         ; attention_bwd.py:47:25 @[ attention_bwd.py:184:50 ]
	s_mul_i32 s38, s18, s29
.Ltmp27:
	.loc	1 155 9                         ; attention_bwd.py:155:9
	s_wait_alu depctr_sa_sdst(0)
	s_add_nc_u64 s[0:1], s[12:13], s[6:7]
	.loc	1 156 9                         ; attention_bwd.py:156:9
	s_add_nc_u64 s[4:5], s[14:15], s[6:7]
.Ltmp28:
	.loc	1 51 24                         ; attention_bwd.py:51:24 @[ attention_bwd.py:184:50 ]
	s_wait_alu depctr_sa_sdst(0)
	v_add_co_u32 v192, vcc_lo, s0, v184
	s_wait_alu depctr_va_vcc(0)
	v_add_co_ci_u32_e64 v193, null, s1, v185, vcc_lo
	.loc	1 64 25                         ; attention_bwd.py:64:25 @[ attention_bwd.py:184:50 ]
	v_add_co_u32 v198, vcc_lo, s4, v184
	s_wait_alu depctr_va_vcc(0)
	v_add_co_ci_u32_e64 v199, null, s5, v185, vcc_lo
	.loc	1 51 24                         ; attention_bwd.py:51:24 @[ attention_bwd.py:184:50 ]
	v_lshlrev_b64_e32 v[184:185], 2, v[216:217]
.Ltmp29:
	.loc	1 171 16                        ; attention_bwd.py:171:16
	s_clause 0x1
	global_load_u16 v217, v[95:96], off
	global_load_u16 v218, v[115:116], off
.Ltmp30:
	.loc	1 47 25                         ; attention_bwd.py:47:25 @[ attention_bwd.py:184:50 ]
	s_mul_i32 s42, s18, s37
	s_mul_i32 s40, s18, s33
	;; [unrolled: 1-line block ×3, first 2 shown]
	s_ashr_i32 s39, s38, 31
	.loc	1 51 24                         ; attention_bwd.py:51:24 @[ attention_bwd.py:184:50 ]
	v_add_co_u32 v194, vcc_lo, s0, v184
	v_writelane_b32 v255, s0, 10
	s_wait_alu depctr_va_vcc(0)
	v_add_co_ci_u32_e64 v195, null, s1, v185, vcc_lo
	.loc	1 64 25                         ; attention_bwd.py:64:25 @[ attention_bwd.py:184:50 ]
	v_add_co_u32 v196, vcc_lo, s4, v184
	.loc	1 38 23                         ; attention_bwd.py:38:23 @[ attention_bwd.py:184:50 ]
	v_or_b32_e32 v184, s58, v0
	v_writelane_b32 v255, s1, 11
.Ltmp31:
	.loc	1 172 20                        ; attention_bwd.py:172:20
	v_readlane_b32 s0, v251, 13
	v_readlane_b32 s1, v251, 14
.Ltmp32:
	.loc	1 47 25                         ; attention_bwd.py:47:25 @[ attention_bwd.py:184:50 ]
	s_wait_alu depctr_sa_sdst(0)
	s_ashr_i32 s41, s40, 31
	.loc	1 41 36                         ; attention_bwd.py:41:36 @[ attention_bwd.py:184:50 ]
	v_mul_lo_u32 v184, s18, v184
	v_writelane_b32 v255, s4, 12
	.loc	1 64 25                         ; attention_bwd.py:64:25 @[ attention_bwd.py:184:50 ]
	s_wait_alu depctr_va_vcc(0)
	v_add_co_ci_u32_e64 v197, null, s5, v185, vcc_lo
	.loc	1 47 25                         ; attention_bwd.py:47:25 @[ attention_bwd.py:184:50 ]
	s_lshl_b64 s[38:39], s[38:39], 1
	s_ashr_i32 s43, s42, 31
	v_writelane_b32 v255, s5, 13
	s_wait_alu depctr_sa_sdst(0)
	s_lshl_b64 s[40:41], s[40:41], 1
	.loc	1 41 18                         ; attention_bwd.py:41:18 @[ attention_bwd.py:184:50 ]
	v_ashrrev_i32_e32 v185, 31, v184
	.loc	1 47 25                         ; attention_bwd.py:47:25 @[ attention_bwd.py:184:50 ]
	s_ashr_i32 s45, s44, 31
	s_lshl_b64 s[42:43], s[42:43], 1
	v_writelane_b32 v255, s84, 14
.Ltmp33:
	.loc	1 172 20                        ; attention_bwd.py:172:20
	s_add_nc_u64 s[4:5], s[34:35], s[84:85]
.Ltmp34:
	.loc	1 41 18                         ; attention_bwd.py:41:18 @[ attention_bwd.py:184:50 ]
	v_lshlrev_b64_e32 v[214:215], 1, v[184:185]
	.loc	1 41 67 is_stmt 0               ; attention_bwd.py:41:67 @[ attention_bwd.py:184:50 ]
	v_mul_lo_u32 v184, s19, v188
	.loc	1 47 25 is_stmt 1               ; attention_bwd.py:47:25 @[ attention_bwd.py:184:50 ]
	s_wait_alu depctr_sa_sdst(0)
	s_lshl_b64 s[44:45], s[44:45], 1
	v_writelane_b32 v255, s85, 15
	s_mov_b64 s[94:95], s[100:101]
	.loc	1 41 18                         ; attention_bwd.py:41:18 @[ attention_bwd.py:184:50 ]
	v_add_co_u32 v186, vcc_lo, s48, v214
	s_wait_alu depctr_va_vcc(0)
	v_add_co_ci_u32_e64 v187, null, s49, v215, vcc_lo
	.loc	1 41 49 is_stmt 0               ; attention_bwd.py:41:49 @[ attention_bwd.py:184:50 ]
	v_ashrrev_i32_e32 v185, 31, v184
	v_writelane_b32 v255, s86, 16
	s_delay_alu instid0(VALU_DEP_2) | instskip(SKIP_2) | instid1(VALU_DEP_2)
	v_lshlrev_b64_e32 v[232:233], 1, v[184:185]
	.loc	1 41 56                         ; attention_bwd.py:41:56 @[ attention_bwd.py:184:50 ]
	v_or_b32_e32 v184, 8, v188
	v_writelane_b32 v255, s87, 17
	.loc	1 41 67                         ; attention_bwd.py:41:67 @[ attention_bwd.py:184:50 ]
	v_mul_lo_u32 v184, s19, v184
	s_delay_alu instid0(VALU_DEP_4) | instskip(SKIP_3) | instid1(VALU_DEP_4)
	.loc	1 41 49                         ; attention_bwd.py:41:49 @[ attention_bwd.py:184:50 ]
	v_add_co_u32 v200, vcc_lo, v186, v232
	s_wait_alu depctr_va_vcc(0)
	v_add_co_ci_u32_e64 v201, null, v187, v233, vcc_lo
	v_writelane_b32 v255, s88, 18
	v_ashrrev_i32_e32 v185, 31, v184
	v_writelane_b32 v255, s89, 19
	s_delay_alu instid0(VALU_DEP_2) | instskip(SKIP_2) | instid1(VALU_DEP_2)
	v_lshlrev_b64_e32 v[153:154], 1, v[184:185]
	.loc	1 41 56                         ; attention_bwd.py:41:56 @[ attention_bwd.py:184:50 ]
	v_or_b32_e32 v184, 16, v188
	v_writelane_b32 v255, s54, 20
	.loc	1 41 67                         ; attention_bwd.py:41:67 @[ attention_bwd.py:184:50 ]
	v_mul_lo_u32 v184, s19, v184
	s_delay_alu instid0(VALU_DEP_4) | instskip(SKIP_3) | instid1(VALU_DEP_4)
	.loc	1 41 49                         ; attention_bwd.py:41:49 @[ attention_bwd.py:184:50 ]
	v_add_co_u32 v202, vcc_lo, v186, v153
	s_wait_alu depctr_va_vcc(0)
	v_add_co_ci_u32_e64 v203, null, v187, v154, vcc_lo
	v_writelane_b32 v255, s55, 21
	;; [unrolled: 15-line block ×5, first 2 shown]
	v_ashrrev_i32_e32 v185, 31, v184
	v_writelane_b32 v255, s81, 31
	s_delay_alu instid0(VALU_DEP_2) | instskip(SKIP_1) | instid1(VALU_DEP_1)
	v_lshlrev_b64_e32 v[235:236], 1, v[184:185]
	.loc	1 41 56                         ; attention_bwd.py:41:56 @[ attention_bwd.py:184:50 ]
	v_or_b32_e32 v184, 48, v188
	.loc	1 41 67                         ; attention_bwd.py:41:67 @[ attention_bwd.py:184:50 ]
	v_mul_lo_u32 v184, s19, v184
	s_delay_alu instid0(VALU_DEP_3) | instskip(SKIP_1) | instid1(VALU_DEP_4)
	.loc	1 41 49                         ; attention_bwd.py:41:49 @[ attention_bwd.py:184:50 ]
	v_add_co_u32 v210, vcc_lo, v186, v235
	s_wait_alu depctr_va_vcc(0)
	v_add_co_ci_u32_e64 v211, null, v187, v236, vcc_lo
	s_delay_alu instid0(VALU_DEP_3) | instskip(NEXT) | instid1(VALU_DEP_1)
	v_ashrrev_i32_e32 v185, 31, v184
	v_lshlrev_b64_e32 v[237:238], 1, v[184:185]
	.loc	1 41 56                         ; attention_bwd.py:41:56 @[ attention_bwd.py:184:50 ]
	v_or_b32_e32 v184, 56, v188
	s_delay_alu instid0(VALU_DEP_1) | instskip(NEXT) | instid1(VALU_DEP_3)
	.loc	1 41 67                         ; attention_bwd.py:41:67 @[ attention_bwd.py:184:50 ]
	v_mul_lo_u32 v184, s19, v184
	.loc	1 41 49                         ; attention_bwd.py:41:49 @[ attention_bwd.py:184:50 ]
	v_add_co_u32 v212, vcc_lo, v186, v237
	s_wait_alu depctr_va_vcc(0)
	s_delay_alu instid0(VALU_DEP_4) | instskip(NEXT) | instid1(VALU_DEP_3)
	v_add_co_ci_u32_e64 v213, null, v187, v238, vcc_lo
	v_ashrrev_i32_e32 v185, 31, v184
	s_delay_alu instid0(VALU_DEP_1) | instskip(SKIP_2) | instid1(VALU_DEP_2)
	v_lshlrev_b64_e32 v[239:240], 1, v[184:185]
.Ltmp35:
	.loc	1 171 16 is_stmt 1              ; attention_bwd.py:171:16
	v_xor_b32_e32 v185, s2, v183
	.loc	1 165 36                        ; attention_bwd.py:165:36
	s_lshr_b32 s2, s28, 1
.Ltmp36:
	.loc	1 41 49                         ; attention_bwd.py:41:49 @[ attention_bwd.py:184:50 ]
	v_add_co_u32 v91, vcc_lo, v186, v239
	s_wait_alu depctr_va_vcc(0)
	s_delay_alu instid0(VALU_DEP_3)
	v_add_co_ci_u32_e64 v92, null, v187, v240, vcc_lo
.Ltmp37:
	.loc	1 171 16                        ; attention_bwd.py:171:16
	s_clause 0x7
	global_load_u16 v188, v[121:122], off
	global_load_u16 v186, v[133:134], off
	global_load_u16 v133, v[125:126], off
	global_load_u16 v129, v[129:130], off
	global_load_u16 v189, v[117:118], off
	global_load_u16 v187, v[123:124], off
	global_load_u16 v134, v[99:100], off
	global_load_u16 v130, v[105:106], off
	.loc	1 172 51                        ; attention_bwd.py:172:51
	v_add_co_u32 v183, vcc_lo, s4, v245
	s_wait_alu depctr_va_vcc(0)
	v_add_co_ci_u32_e64 v184, null, s5, v246, vcc_lo
	.loc	1 172 20 is_stmt 0              ; attention_bwd.py:172:20
	s_add_nc_u64 s[4:5], s[34:35], s[86:87]
	.loc	1 171 16 is_stmt 1              ; attention_bwd.py:171:16
	v_add_nc_u32_e32 v98, 0, v185
	.loc	1 172 51                        ; attention_bwd.py:172:51
	s_wait_alu depctr_sa_sdst(0)
	v_add_co_u32 v121, vcc_lo, s4, v245
	s_wait_alu depctr_va_vcc(0)
	v_add_co_ci_u32_e64 v122, null, s5, v246, vcc_lo
	.loc	1 172 20 is_stmt 0              ; attention_bwd.py:172:20
	s_add_nc_u64 s[4:5], s[34:35], s[88:89]
	v_xor_b32_e32 v97, 32, v185
	.loc	1 172 51                        ; attention_bwd.py:172:51
	s_wait_alu depctr_sa_sdst(0)
	v_add_co_u32 v125, vcc_lo, s4, v245
	s_wait_alu depctr_va_vcc(0)
	v_add_co_ci_u32_e64 v126, null, s5, v246, vcc_lo
	.loc	1 172 20                        ; attention_bwd.py:172:20
	s_add_nc_u64 s[4:5], s[34:35], s[54:55]
	.loc	1 171 16 is_stmt 1              ; attention_bwd.py:171:16
	s_wait_loadcnt 0x27
	ds_store_b16 v98, v166 offset:3072
	s_wait_loadcnt 0x9
	ds_store_b16 v98, v217 offset:4096
	.loc	1 172 51                        ; attention_bwd.py:172:51
	s_wait_alu depctr_sa_sdst(0)
	v_add_co_u32 v117, vcc_lo, s4, v245
	s_wait_alu depctr_va_vcc(0)
	v_add_co_ci_u32_e64 v118, null, s5, v246, vcc_lo
	.loc	1 172 20 is_stmt 0              ; attention_bwd.py:172:20
	s_add_nc_u64 s[4:5], s[34:35], s[102:103]
.Ltmp38:
	.loc	1 51 24 is_stmt 1               ; attention_bwd.py:51:24 @[ attention_bwd.py:184:50 ]
	v_mov_b32_e32 v217, 0
.Ltmp39:
	.loc	1 172 51                        ; attention_bwd.py:172:51
	s_wait_alu depctr_sa_sdst(0)
	v_add_co_u32 v99, vcc_lo, s4, v245
	s_wait_alu depctr_va_vcc(0)
	v_add_co_ci_u32_e64 v100, null, s5, v246, vcc_lo
	.loc	1 172 20 is_stmt 0              ; attention_bwd.py:172:20
	s_add_nc_u64 s[4:5], s[34:35], s[0:1]
	v_readlane_b32 s0, v251, 15
	v_readlane_b32 s1, v251, 16
	.loc	1 172 51                        ; attention_bwd.py:172:51
	s_wait_alu depctr_sa_sdst(0)
	v_add_co_u32 v123, vcc_lo, s4, v245
	s_wait_alu depctr_va_vcc(0)
	v_add_co_ci_u32_e64 v124, null, s5, v246, vcc_lo
	.loc	1 172 20                        ; attention_bwd.py:172:20
	s_add_nc_u64 s[4:5], s[34:35], s[0:1]
	v_readlane_b32 s0, v251, 17
	v_readlane_b32 s1, v251, 18
	.loc	1 172 51                        ; attention_bwd.py:172:51
	s_wait_alu depctr_sa_sdst(0)
	v_add_co_u32 v105, vcc_lo, s4, v245
	s_wait_alu depctr_va_vcc(0)
	v_add_co_ci_u32_e64 v106, null, s5, v246, vcc_lo
	.loc	1 172 20                        ; attention_bwd.py:172:20
	s_add_nc_u64 s[4:5], s[34:35], s[0:1]
	v_readlane_b32 s0, v251, 19
	.loc	1 172 51                        ; attention_bwd.py:172:51
	s_wait_alu depctr_sa_sdst(0)
	v_add_co_u32 v83, vcc_lo, s4, v245
	.loc	1 172 20                        ; attention_bwd.py:172:20
	v_readlane_b32 s1, v251, 20
	.loc	1 172 51                        ; attention_bwd.py:172:51
	s_wait_alu depctr_va_vcc(0)
	v_add_co_ci_u32_e64 v84, null, s5, v246, vcc_lo
	.loc	1 172 20                        ; attention_bwd.py:172:20
	s_add_nc_u64 s[4:5], s[34:35], s[56:57]
	.loc	1 171 16 is_stmt 1              ; attention_bwd.py:171:16
	v_add_nc_u32_e32 v97, 0, v97
	.loc	1 172 51                        ; attention_bwd.py:172:51
	s_wait_alu depctr_sa_sdst(0)
	v_add_co_u32 v89, vcc_lo, s4, v245
	s_wait_alu depctr_va_vcc(0)
	v_add_co_ci_u32_e64 v90, null, s5, v246, vcc_lo
	.loc	1 172 20 is_stmt 0              ; attention_bwd.py:172:20
	s_add_nc_u64 s[4:5], s[34:35], s[0:1]
	v_readlane_b32 s0, v251, 21
	v_readlane_b32 s1, v251, 22
	.loc	1 172 51                        ; attention_bwd.py:172:51
	s_wait_alu depctr_sa_sdst(0)
	v_add_co_u32 v115, vcc_lo, s4, v245
	s_wait_alu depctr_va_vcc(0)
	v_add_co_ci_u32_e64 v116, null, s5, v246, vcc_lo
	.loc	1 172 20                        ; attention_bwd.py:172:20
	s_add_nc_u64 s[4:5], s[34:35], s[0:1]
	v_readlane_b32 s0, v251, 23
	.loc	1 172 51                        ; attention_bwd.py:172:51
	s_wait_alu depctr_sa_sdst(0)
	v_add_co_u32 v107, vcc_lo, s4, v245
	.loc	1 172 20                        ; attention_bwd.py:172:20
	v_readlane_b32 s1, v251, 24
	.loc	1 172 51                        ; attention_bwd.py:172:51
	s_wait_alu depctr_va_vcc(0)
	v_add_co_ci_u32_e64 v108, null, s5, v246, vcc_lo
	.loc	1 172 20                        ; attention_bwd.py:172:20
	s_add_nc_u64 s[4:5], s[34:35], s[62:63]
	.loc	1 171 16 is_stmt 1              ; attention_bwd.py:171:16
	s_wait_loadcnt 0x8
	ds_store_b16 v98, v218 offset:5120
	ds_store_b16 v98, v219 offset:6144
	.loc	1 172 51                        ; attention_bwd.py:172:51
	s_wait_alu depctr_sa_sdst(0)
	v_add_co_u32 v95, vcc_lo, s4, v245
	s_wait_alu depctr_va_vcc(0)
	v_add_co_ci_u32_e64 v96, null, s5, v246, vcc_lo
	.loc	1 172 20 is_stmt 0              ; attention_bwd.py:172:20
	s_add_nc_u64 s[4:5], s[34:35], s[0:1]
	v_readlane_b32 s0, v251, 25
	.loc	1 172 51                        ; attention_bwd.py:172:51
	s_wait_alu depctr_sa_sdst(0)
	v_add_co_u32 v5, vcc_lo, s4, v245
	s_wait_alu depctr_va_vcc(0)
	v_add_co_ci_u32_e64 v6, null, s5, v246, vcc_lo
	.loc	1 172 20                        ; attention_bwd.py:172:20
	s_add_nc_u64 s[4:5], s[34:35], s[68:69]
	v_readlane_b32 s1, v251, 26
	.loc	1 172 51                        ; attention_bwd.py:172:51
	s_wait_alu depctr_sa_sdst(0)
	v_add_co_u32 v15, vcc_lo, s4, v245
	s_wait_alu depctr_va_vcc(0)
	v_add_co_ci_u32_e64 v16, null, s5, v246, vcc_lo
	.loc	1 172 20                        ; attention_bwd.py:172:20
	s_add_nc_u64 s[4:5], s[34:35], s[80:81]
	v_mov_b32_e32 v218, v217
	.loc	1 172 51                        ; attention_bwd.py:172:51
	s_wait_alu depctr_sa_sdst(0)
	v_add_co_u32 v21, vcc_lo, s4, v245
	s_wait_alu depctr_va_vcc(0)
	v_add_co_ci_u32_e64 v22, null, s5, v246, vcc_lo
	.loc	1 172 20                        ; attention_bwd.py:172:20
	s_add_nc_u64 s[4:5], s[34:35], s[0:1]
	v_readlane_b32 s0, v251, 27
	.loc	1 172 51                        ; attention_bwd.py:172:51
	s_wait_alu depctr_sa_sdst(0)
	v_add_co_u32 v1, vcc_lo, s4, v245
	.loc	1 172 20                        ; attention_bwd.py:172:20
	v_readlane_b32 s1, v251, 28
	.loc	1 172 51                        ; attention_bwd.py:172:51
	s_wait_alu depctr_va_vcc(0)
	v_add_co_ci_u32_e64 v2, null, s5, v246, vcc_lo
	.loc	1 172 20                        ; attention_bwd.py:172:20
	s_add_nc_u64 s[4:5], s[34:35], s[90:91]
	.loc	1 171 16 is_stmt 1              ; attention_bwd.py:171:16
	ds_store_b16 v97, v229 offset:8448
	ds_store_b16 v97, v53 offset:9472
	.loc	1 172 51                        ; attention_bwd.py:172:51
	s_wait_alu depctr_sa_sdst(0)
	v_add_co_u32 v11, vcc_lo, s4, v245
	s_wait_alu depctr_va_vcc(0)
	v_add_co_ci_u32_e64 v12, null, s5, v246, vcc_lo
	.loc	1 172 20 is_stmt 0              ; attention_bwd.py:172:20
	s_add_nc_u64 s[4:5], s[34:35], s[0:1]
	v_readlane_b32 s0, v251, 29
	v_readlane_b32 s1, v251, 30
	.loc	1 172 51                        ; attention_bwd.py:172:51
	s_wait_alu depctr_sa_sdst(0)
	v_add_co_u32 v27, vcc_lo, s4, v245
	s_wait_alu depctr_va_vcc(0)
	v_add_co_ci_u32_e64 v28, null, s5, v246, vcc_lo
	.loc	1 172 20                        ; attention_bwd.py:172:20
	s_add_nc_u64 s[4:5], s[34:35], s[0:1]
	v_readlane_b32 s0, v251, 31
	v_readlane_b32 s1, v254, 0
	.loc	1 172 51                        ; attention_bwd.py:172:51
	s_wait_alu depctr_sa_sdst(0)
	v_add_co_u32 v3, vcc_lo, s4, v245
	s_wait_alu depctr_va_vcc(0)
	v_add_co_ci_u32_e64 v4, null, s5, v246, vcc_lo
	.loc	1 172 20                        ; attention_bwd.py:172:20
	;; [unrolled: 9-line block ×11, first 2 shown]
	s_add_nc_u64 s[4:5], s[34:35], s[0:1]
	v_readlane_b32 s0, v254, 19
	v_readlane_b32 s1, v254, 20
	.loc	1 172 51                        ; attention_bwd.py:172:51
	s_wait_alu depctr_sa_sdst(0)
	v_add_co_u32 v35, vcc_lo, s4, v245
	v_xor_b32_e32 v53, 64, v185
	s_wait_alu depctr_va_vcc(0)
	v_add_co_ci_u32_e64 v36, null, s5, v246, vcc_lo
	.loc	1 172 20                        ; attention_bwd.py:172:20
	s_add_nc_u64 s[4:5], s[34:35], s[0:1]
	v_readlane_b32 s0, v254, 21
	v_readlane_b32 s1, v254, 22
	.loc	1 171 16 is_stmt 1              ; attention_bwd.py:171:16
	ds_store_b16 v98, v161 offset:13312
	ds_store_b16 v98, v162 offset:14336
	;; [unrolled: 1-line block ×9, first 2 shown]
	v_add_nc_u32_e32 v85, 0, v53
	v_xor_b32_e32 v53, 0x60, v185
	.loc	1 172 51                        ; attention_bwd.py:172:51
	s_wait_alu depctr_sa_sdst(0)
	v_add_co_u32 v37, vcc_lo, s4, v245
	s_wait_alu depctr_va_vcc(0)
	v_add_co_ci_u32_e64 v38, null, s5, v246, vcc_lo
	.loc	1 172 20 is_stmt 0              ; attention_bwd.py:172:20
	s_add_nc_u64 s[4:5], s[34:35], s[0:1]
	v_readlane_b32 s0, v254, 23
	v_readlane_b32 s1, v254, 24
	.loc	1 171 16 is_stmt 1              ; attention_bwd.py:171:16
	v_add_nc_u32_e32 v86, 0, v53
	.loc	1 172 51                        ; attention_bwd.py:172:51
	s_wait_alu depctr_sa_sdst(0)
	v_add_co_u32 v31, vcc_lo, s4, v245
	s_wait_alu depctr_va_vcc(0)
	v_add_co_ci_u32_e64 v32, null, s5, v246, vcc_lo
	.loc	1 172 20 is_stmt 0              ; attention_bwd.py:172:20
	s_add_nc_u64 s[4:5], s[34:35], s[0:1]
	v_readlane_b32 s0, v254, 25
	.loc	1 171 16 is_stmt 1              ; attention_bwd.py:171:16
	s_wait_loadcnt 0x7
	ds_store_b16 v98, v188
	.loc	1 172 20                        ; attention_bwd.py:172:20
	v_readlane_b32 s1, v254, 26
	.loc	1 171 16                        ; attention_bwd.py:171:16
	s_wait_loadcnt 0x3
	ds_store_b16 v98, v189 offset:1024
	ds_store_b16 v98, v190 offset:2048
	;; [unrolled: 1-line block ×9, first 2 shown]
	s_wait_loadcnt 0x2
	ds_store_b16 v97, v187 offset:1280
	ds_store_b16 v97, v191 offset:2304
	;; [unrolled: 1-line block ×8, first 2 shown]
	s_wait_loadcnt 0x1
	ds_store_b16 v85, v134 offset:1536
	ds_store_b16 v85, v169 offset:2560
	ds_store_b16 v85, v171 offset:3584
	ds_store_b16 v85, v175 offset:4608
	ds_store_b16 v85, v220 offset:5632
	ds_store_b16 v85, v224 offset:6656
	ds_store_b16 v85, v226 offset:7680
	ds_store_b16 v85, v112 offset:8704
	ds_store_b16 v85, v149 offset:9728
	ds_store_b16 v85, v164 offset:10752
	ds_store_b16 v85, v57 offset:11776
	ds_store_b16 v85, v58 offset:12800
	ds_store_b16 v85, v69 offset:13824
	ds_store_b16 v85, v70 offset:14848
	ds_store_b16 v85, v101 offset:15872
	ds_store_b16 v86, v129 offset:768
	s_wait_loadcnt 0x0
	ds_store_b16 v86, v130 offset:1792
	ds_store_b16 v86, v173 offset:2816
	;; [unrolled: 1-line block ×15, first 2 shown]
	.loc	1 172 51                        ; attention_bwd.py:172:51
	s_wait_alu depctr_sa_sdst(0)
	v_add_co_u32 v39, vcc_lo, s4, v245
	s_wait_alu depctr_va_vcc(0)
	v_add_co_ci_u32_e64 v40, null, s5, v246, vcc_lo
	.loc	1 172 20 is_stmt 0              ; attention_bwd.py:172:20
	s_add_nc_u64 s[4:5], s[34:35], s[0:1]
	v_readlane_b32 s0, v254, 27
	v_readlane_b32 s1, v254, 28
	.loc	1 172 51                        ; attention_bwd.py:172:51
	s_wait_alu depctr_sa_sdst(0)
	v_add_co_u32 v41, vcc_lo, s4, v245
	s_wait_alu depctr_va_vcc(0)
	v_add_co_ci_u32_e64 v42, null, s5, v246, vcc_lo
	.loc	1 172 20                        ; attention_bwd.py:172:20
	s_add_nc_u64 s[4:5], s[34:35], s[0:1]
	v_mov_b32_e32 v150, v0
	.loc	1 172 51                        ; attention_bwd.py:172:51
	s_wait_alu depctr_sa_sdst(0)
	v_add_co_u32 v43, vcc_lo, s4, v245
	s_wait_alu depctr_va_vcc(0)
	v_add_co_ci_u32_e64 v44, null, s5, v246, vcc_lo
	v_dual_mov_b32 v221, v217 :: v_dual_lshlrev_b32 v144, 7, v150
	v_mov_b32_e32 v163, v234
	.loc	1 172 20                        ; attention_bwd.py:172:20
	v_readlane_b32 s0, v254, 29
	v_readlane_b32 s1, v254, 30
	v_mov_b32_e32 v220, v217
	v_readlane_b32 s90, v251, 11
	v_readlane_b32 s91, v251, 12
	s_mov_b64 s[102:103], s[26:27]
	s_add_nc_u64 s[4:5], s[34:35], s[0:1]
	v_readlane_b32 s0, v254, 31
	v_readlane_b32 s1, v253, 0
	.loc	1 172 51                        ; attention_bwd.py:172:51
	s_wait_alu depctr_sa_sdst(0)
	v_add_co_u32 v45, vcc_lo, s4, v245
	s_wait_alu depctr_va_vcc(0)
	v_add_co_ci_u32_e64 v46, null, s5, v246, vcc_lo
	.loc	1 172 20                        ; attention_bwd.py:172:20
	s_add_nc_u64 s[4:5], s[34:35], s[0:1]
	v_readlane_b32 s0, v253, 1
	v_readlane_b32 s1, v253, 2
	.loc	1 172 51                        ; attention_bwd.py:172:51
	s_wait_alu depctr_sa_sdst(0)
	v_add_co_u32 v47, vcc_lo, s4, v245
	s_wait_alu depctr_va_vcc(0)
	v_add_co_ci_u32_e64 v48, null, s5, v246, vcc_lo
	.loc	1 172 20                        ; attention_bwd.py:172:20
	s_add_nc_u64 s[4:5], s[34:35], s[0:1]
	v_readlane_b32 s0, v250, 2
	.loc	1 172 51                        ; attention_bwd.py:172:51
	s_wait_alu depctr_sa_sdst(0)
	v_add_co_u32 v49, vcc_lo, s4, v245
	s_wait_alu depctr_va_vcc(0)
	v_add_co_ci_u32_e64 v50, null, s5, v246, vcc_lo
	v_readlane_b32 s1, v250, 3
	v_mov_b32_e32 v219, v217
	v_dual_mov_b32 v223, v217 :: v_dual_mov_b32 v222, v217
	v_mov_b32_e32 v224, v217
	s_load_b256 s[72:79], s[0:1], 0x20
	v_lshlrev_b32_e32 v228, 4, v163
	v_add_nc_u32_e32 v226, 0, v163
	.loc	1 151 10 is_stmt 1              ; attention_bwd.py:151:10
	s_wait_kmcnt 0x0
	s_add_nc_u64 s[4:5], s[72:73], s[16:17]
.Ltmp40:
	.loc	1 42 19                         ; attention_bwd.py:42:19 @[ attention_bwd.py:184:50 ]
	s_wait_alu depctr_sa_sdst(0)
	s_add_nc_u64 s[0:1], s[4:5], s[92:93]
	.loc	1 42 50 is_stmt 0               ; attention_bwd.py:42:50 @[ attention_bwd.py:184:50 ]
	s_wait_alu depctr_sa_sdst(0)
	v_add_co_u32 v145, vcc_lo, s0, v245
	s_wait_alu depctr_va_vcc(0)
	v_add_co_ci_u32_e64 v146, null, s1, v246, vcc_lo
	.loc	1 42 19                         ; attention_bwd.py:42:19 @[ attention_bwd.py:184:50 ]
	s_add_nc_u64 s[0:1], s[4:5], s[90:91]
	.loc	1 42 50                         ; attention_bwd.py:42:50 @[ attention_bwd.py:184:50 ]
	s_wait_alu depctr_sa_sdst(0)
	v_add_co_u32 v157, vcc_lo, s0, v245
	s_wait_alu depctr_va_vcc(0)
	v_add_co_ci_u32_e64 v158, null, s1, v246, vcc_lo
	.loc	1 42 19                         ; attention_bwd.py:42:19 @[ attention_bwd.py:184:50 ]
	s_add_nc_u64 s[0:1], s[4:5], s[96:97]
	.loc	1 42 50                         ; attention_bwd.py:42:50 @[ attention_bwd.py:184:50 ]
	s_wait_alu depctr_sa_sdst(0)
	v_add_co_u32 v159, vcc_lo, s0, v245
	s_wait_alu depctr_va_vcc(0)
	v_add_co_ci_u32_e64 v160, null, s1, v246, vcc_lo
	.loc	1 42 19                         ; attention_bwd.py:42:19 @[ attention_bwd.py:184:50 ]
	s_add_nc_u64 s[0:1], s[4:5], s[24:25]
	.loc	1 42 50                         ; attention_bwd.py:42:50 @[ attention_bwd.py:184:50 ]
	s_wait_alu depctr_sa_sdst(0)
	v_add_co_u32 v161, vcc_lo, s0, v245
	s_wait_alu depctr_va_vcc(0)
	v_add_co_ci_u32_e64 v162, null, s1, v246, vcc_lo
	.loc	1 42 19                         ; attention_bwd.py:42:19 @[ attention_bwd.py:184:50 ]
	s_add_nc_u64 s[0:1], s[4:5], s[26:27]
	.loc	1 47 25 is_stmt 1               ; attention_bwd.py:47:25 @[ attention_bwd.py:184:50 ]
	s_or_b32 s27, s52, 10
	.loc	1 42 50                         ; attention_bwd.py:42:50 @[ attention_bwd.py:184:50 ]
	s_wait_alu depctr_sa_sdst(0)
	v_add_co_u32 v165, vcc_lo, s0, v245
	s_wait_alu depctr_va_vcc(0)
	v_add_co_ci_u32_e64 v166, null, s1, v246, vcc_lo
	.loc	1 42 19 is_stmt 0               ; attention_bwd.py:42:19 @[ attention_bwd.py:184:50 ]
	s_add_nc_u64 s[0:1], s[4:5], s[66:67]
	.loc	1 47 25 is_stmt 1               ; attention_bwd.py:47:25 @[ attention_bwd.py:184:50 ]
	s_mul_i32 s36, s18, s27
	.loc	1 42 50                         ; attention_bwd.py:42:50 @[ attention_bwd.py:184:50 ]
	s_wait_alu depctr_sa_sdst(0)
	v_add_co_u32 v167, vcc_lo, s0, v245
	s_wait_alu depctr_va_vcc(0)
	v_add_co_ci_u32_e64 v168, null, s1, v246, vcc_lo
	.loc	1 42 19 is_stmt 0               ; attention_bwd.py:42:19 @[ attention_bwd.py:184:50 ]
	s_add_nc_u64 s[0:1], s[4:5], s[64:65]
	v_writelane_b32 v250, s4, 0
	.loc	1 42 50                         ; attention_bwd.py:42:50 @[ attention_bwd.py:184:50 ]
	s_wait_alu depctr_sa_sdst(0)
	v_add_co_u32 v186, vcc_lo, s0, v245
	s_wait_alu depctr_va_vcc(0)
	v_add_co_ci_u32_e64 v187, null, s1, v246, vcc_lo
	.loc	1 42 19                         ; attention_bwd.py:42:19 @[ attention_bwd.py:184:50 ]
	s_add_nc_u64 s[0:1], s[4:5], s[60:61]
	.loc	1 47 25 is_stmt 1               ; attention_bwd.py:47:25 @[ attention_bwd.py:184:50 ]
	s_ashr_i32 s37, s36, 31
	.loc	1 42 50                         ; attention_bwd.py:42:50 @[ attention_bwd.py:184:50 ]
	s_wait_alu depctr_sa_sdst(0)
	v_add_co_u32 v188, vcc_lo, s0, v245
	s_wait_alu depctr_va_vcc(0)
	v_add_co_ci_u32_e64 v189, null, s1, v246, vcc_lo
	.loc	1 72 28                         ; attention_bwd.py:72:28 @[ attention_bwd.py:184:50 ]
	s_lshl_b32 s0, s18, 4
	.loc	1 47 25                         ; attention_bwd.py:47:25 @[ attention_bwd.py:184:50 ]
	s_lshl_b64 s[36:37], s[36:37], 1
	s_wait_alu depctr_sa_sdst(0)
	s_ashr_i32 s1, s0, 31
	v_writelane_b32 v250, s5, 1
	s_wait_alu depctr_sa_sdst(0)
	s_lshl_b64 s[88:89], s[0:1], 1
	s_add_nc_u64 s[0:1], s[8:9], s[6:7]
	s_mul_i32 s6, s18, s10
	s_mul_i32 s10, s18, s11
	s_wait_alu depctr_sa_sdst(0)
	s_ashr_i32 s7, s6, 31
	s_add_nc_u64 s[8:9], s[72:73], s[88:89]
	s_ashr_i32 s11, s10, 31
	s_wait_alu depctr_sa_sdst(0)
	s_lshl_b64 s[6:7], s[6:7], 1
	s_lshl_b64 s[10:11], s[10:11], 1
	s_wait_alu depctr_sa_sdst(0)
	s_add_nc_u64 s[6:7], s[8:9], s[6:7]
	s_add_nc_u64 s[10:11], s[8:9], s[10:11]
	;; [unrolled: 1-line block ×8, first 2 shown]
	s_mov_b64 s[4:5], 0
.Ltmp41:
	.loc	1 171 16                        ; attention_bwd.py:171:16
	s_wait_storecnt_dscnt 0x0
	s_barrier_signal -1
	s_barrier_wait -1
	global_inv scope:SCOPE_SE
	.loc	1 172 16                        ; attention_bwd.py:172:16
	s_clause 0x1a
	global_load_u16 v51, v[123:124], off
	global_load_u16 v52, v[115:116], off
	;; [unrolled: 1-line block ×27, first 2 shown]
	scratch_load_b64 v[58:59], off, off th:TH_LOAD_LU ; 8-byte Folded Reload
	.loc	1 171 16                        ; attention_bwd.py:171:16
	v_lshlrev_b32_e32 v74, 4, v249
	.loc	1 172 16                        ; attention_bwd.py:172:16
	s_wait_loadcnt 0x0
	s_clause 0xc
	global_load_u16 v58, v[58:59], off
	global_load_u16 v59, v[81:82], off
	;; [unrolled: 1-line block ×13, first 2 shown]
	.loc	1 171 16                        ; attention_bwd.py:171:16
	v_and_or_b32 v74, 0x70, v74, v144
	.loc	1 172 16                        ; attention_bwd.py:172:16
	s_clause 0x6
	global_load_u16 v3, v[3:4], off
	global_load_u16 v1, v[1:2], off
	;; [unrolled: 1-line block ×7, first 2 shown]
	.loc	1 171 16                        ; attention_bwd.py:171:16
	v_xor_b32_e32 v74, v74, v163
	.loc	1 172 16                        ; attention_bwd.py:172:16
	s_clause 0x3
	global_load_u16 v75, v[131:132], off
	global_load_u16 v77, v[183:184], off
	;; [unrolled: 1-line block ×4, first 2 shown]
	.loc	1 171 16                        ; attention_bwd.py:171:16
	v_lshl_or_b32 v74, s28, 6, v74
	s_delay_alu instid0(VALU_DEP_1)
	v_add_nc_u32_e32 v0, 0, v74
	v_xor_b32_e32 v9, 32, v74
	ds_load_b128 v[78:81], v0
	.loc	1 172 16                        ; attention_bwd.py:172:16
	s_wait_dscnt 0x0
	scratch_store_b128 off, v[78:81], off offset:240 ; 16-byte Folded Spill
	s_clause 0x3
	global_load_u16 v78, v[83:84], off
	global_load_u16 v79, v[95:96], off
	;; [unrolled: 1-line block ×4, first 2 shown]
	.loc	1 171 16                        ; attention_bwd.py:171:16
	ds_load_b128 v[80:83], v0 offset:8192
	.loc	1 172 16                        ; attention_bwd.py:172:16
	s_wait_dscnt 0x0
	scratch_store_b128 off, v[80:83], off   ; 16-byte Folded Spill
	.loc	1 171 16                        ; attention_bwd.py:171:16
	v_add_nc_u32_e32 v81, 0, v9
	ds_load_b128 v[11:14], v81
	.loc	1 172 16                        ; attention_bwd.py:172:16
	s_wait_dscnt 0x0
	scratch_store_b128 off, v[11:14], off offset:16 ; 16-byte Folded Spill
	s_clause 0x3
	global_load_u16 v9, v[17:18], off
	global_load_u16 v11, v[33:34], off
	;; [unrolled: 1-line block ×4, first 2 shown]
	.loc	1 171 16                        ; attention_bwd.py:171:16
	ds_load_b128 v[33:36], v81 offset:8192
	v_xor_b32_e32 v24, 64, v74
	.loc	1 172 16                        ; attention_bwd.py:172:16
	s_clause 0x3
	global_load_u16 v14, v[45:46], off
	global_load_u16 v17, v[39:40], off
	;; [unrolled: 1-line block ×4, first 2 shown]
	s_wait_dscnt 0x0
	scratch_store_b128 off, v[33:36], off offset:32 ; 16-byte Folded Spill
	.loc	1 171 16                        ; attention_bwd.py:171:16
	v_add_nc_u32_e32 v35, 0, v24
	.loc	1 172 16                        ; attention_bwd.py:172:16
	global_load_u16 v33, v[41:42], off
	.loc	1 171 16                        ; attention_bwd.py:171:16
	v_xor_b32_e32 v34, 0x60, v74
	ds_load_b128 v[39:42], v35
	v_add_nc_u32_e32 v24, 0, v34
	s_wait_dscnt 0x0
	scratch_store_b128 off, v[39:42], off offset:224 ; 16-byte Folded Spill
	ds_load_b128 v[39:42], v35 offset:8192
	s_wait_dscnt 0x0
	scratch_store_b128 off, v[39:42], off offset:208 ; 16-byte Folded Spill
	ds_load_b128 v[39:42], v24
	s_wait_dscnt 0x0
	scratch_store_b128 off, v[39:42], off offset:192 ; 16-byte Folded Spill
	ds_load_b128 v[39:42], v24 offset:8192
	.loc	1 172 16                        ; attention_bwd.py:172:16
	s_wait_dscnt 0x0
	scratch_store_b128 off, v[39:42], off offset:176 ; 16-byte Folded Spill
	s_wait_loadcnt 0x0
	s_wait_storecnt 0x0
	s_barrier_signal -1
	s_barrier_wait -1
	global_inv scope:SCOPE_SE
	ds_store_b16 v98, v37
	ds_store_b16 v98, v38 offset:1024
	ds_store_b16 v98, v59 offset:2048
	ds_store_b16 v98, v60 offset:3072
	ds_store_b16 v98, v67 offset:4096
	ds_store_b16 v98, v68 offset:5120
	ds_store_b16 v98, v27 offset:6144
	ds_store_b16 v98, v28 offset:7168
	ds_store_b16 v98, v51 offset:8192
	ds_store_b16 v98, v52 offset:9216
	ds_store_b16 v98, v15 offset:10240
	ds_store_b16 v98, v16 offset:11264
	ds_store_b16 v98, v22 offset:12288
	ds_store_b16 v98, v19 offset:13312
	ds_store_b16 v98, v8 offset:14336
	s_clause 0x3                            ; 16-byte Folded Spill
	scratch_store_b32 off, v98, off offset:1372
	scratch_store_b32 off, v97, off offset:1376
	;; [unrolled: 1-line block ×4, first 2 shown]
	ds_store_b16 v98, v25 offset:15360
	ds_store_b16 v97, v43 offset:256
	;; [unrolled: 1-line block ×49, first 2 shown]
	s_wait_storecnt 0x0
	s_wait_loadcnt_dscnt 0x0
	s_barrier_signal -1
	v_dual_mov_b32 v65, v217 :: v_dual_lshlrev_b32 v72, 5, v150
	s_barrier_wait -1
	global_inv scope:SCOPE_SE
	ds_load_b128 v[1:4], v0
	s_wait_dscnt 0x0
	s_clause 0x1                            ; 20-byte Folded Spill
	scratch_store_b128 off, v[1:4], off offset:128
	scratch_store_b32 off, v0, off offset:1452
	ds_load_b128 v[0:3], v0 offset:8192
.Ltmp42:
	.loc	1 64 21                         ; attention_bwd.py:64:21 @[ attention_bwd.py:184:50 ]
	global_load_b32 v136, v[198:199], off
	.loc	1 51 20                         ; attention_bwd.py:51:20 @[ attention_bwd.py:184:50 ]
	s_clause 0x2
	global_load_b32 v128, v[192:193], off
	global_load_b128 v[129:132], v[194:195], off offset:4
	global_load_b96 v[133:135], v[194:195], off offset:20
	.loc	1 64 21                         ; attention_bwd.py:64:21 @[ attention_bwd.py:184:50 ]
	s_clause 0x1
	global_load_b128 v[137:140], v[196:197], off offset:4
	global_load_b96 v[141:143], v[196:197], off offset:20
	.loc	1 58 21                         ; attention_bwd.py:58:21 @[ attention_bwd.py:184:50 ]
	global_load_u16 v5, v[159:160], off
	.loc	1 48 21                         ; attention_bwd.py:48:21 @[ attention_bwd.py:184:50 ]
	global_load_u16 v6, v[204:205], off
	;; [unrolled: 2-line block ×12, first 2 shown]
	s_clause 0x8                            ; 68-byte Folded Spill
	scratch_store_b64 off, v[145:146], off offset:1388
	scratch_store_b64 off, v[157:158], off offset:1396
	scratch_store_b64 off, v[159:160], off offset:1404
	scratch_store_b64 off, v[161:162], off offset:1412
	scratch_store_b64 off, v[165:166], off offset:1420
	scratch_store_b64 off, v[167:168], off offset:1428
	scratch_store_b64 off, v[186:187], off offset:1436
	scratch_store_b32 off, v24, off offset:1460
	scratch_store_b64 off, v[188:189], off offset:1444
	.loc	1 64 21                         ; attention_bwd.py:64:21 @[ attention_bwd.py:184:50 ]
	s_wait_dscnt 0x0
	scratch_store_b128 off, v[0:3], off offset:112 ; 16-byte Folded Spill
.Ltmp43:
	.loc	1 172 16                        ; attention_bwd.py:172:16
	ds_load_b128 v[0:3], v81
	s_wait_dscnt 0x0
	s_clause 0x1                            ; 20-byte Folded Spill
	scratch_store_b128 off, v[0:3], off offset:160
	scratch_store_b32 off, v81, off offset:1456
	ds_load_b128 v[0:3], v81 offset:8192
	s_wait_dscnt 0x0
	scratch_store_b128 off, v[0:3], off offset:144 ; 16-byte Folded Spill
	ds_load_b128 v[0:3], v35
	s_wait_dscnt 0x0
	s_clause 0x1                            ; 20-byte Folded Spill
	scratch_store_b128 off, v[0:3], off offset:96
	scratch_store_b32 off, v35, off offset:1464
	ds_load_b128 v[0:3], v35 offset:8192
	s_wait_dscnt 0x0
	scratch_store_b128 off, v[0:3], off offset:80 ; 16-byte Folded Spill
	ds_load_b128 v[0:3], v24
.Ltmp44:
	.loc	1 51 20                         ; attention_bwd.py:51:20 @[ attention_bwd.py:184:50 ]
	s_wait_dscnt 0x0
	scratch_store_b128 off, v[0:3], off offset:48 ; 16-byte Folded Spill
.Ltmp45:
	.loc	1 172 16                        ; attention_bwd.py:172:16
	ds_load_b128 v[0:3], v24 offset:8192
.Ltmp46:
	.loc	1 51 20                         ; attention_bwd.py:51:20 @[ attention_bwd.py:184:50 ]
	s_wait_dscnt 0x0
	scratch_store_b128 off, v[0:3], off offset:64 ; 16-byte Folded Spill
	.loc	1 58 21                         ; attention_bwd.py:58:21 @[ attention_bwd.py:184:50 ]
	global_load_u16 v1, v[145:146], off
	.loc	1 48 21                         ; attention_bwd.py:48:21 @[ attention_bwd.py:184:50 ]
	global_load_u16 v2, v[200:201], off
	;; [unrolled: 2-line block ×4, first 2 shown]
	s_wait_loadcnt 0x0
	s_wait_storecnt 0x0
	s_barrier_signal -1
.Ltmp47:
	.loc	1 165 36                        ; attention_bwd.py:165:36
	scratch_load_b32 v0, off, off offset:256 th:TH_LOAD_LU ; 4-byte Folded Reload
.Ltmp48:
	.loc	1 48 21                         ; attention_bwd.py:48:21 @[ attention_bwd.py:184:50 ]
	s_barrier_wait -1
	s_wait_loadcnt 0x0
	global_inv scope:SCOPE_SE
	s_clause 0x5                            ; 48-byte Folded Spill
	scratch_store_b64 off, v[247:248], off offset:1568
	scratch_store_b64 off, v[232:233], off offset:1592
	;; [unrolled: 1-line block ×6, first 2 shown]
.Ltmp49:
	.loc	1 165 36                        ; attention_bwd.py:165:36
	v_and_b32_e32 v17, 0x7f, v0
	scratch_store_b32 off, v17, off offset:1608 ; 4-byte Folded Spill
.Ltmp50:
	.loc	1 48 21                         ; attention_bwd.py:48:21 @[ attention_bwd.py:184:50 ]
	v_lshlrev_b32_e32 v17, 1, v17
	s_delay_alu instid0(VALU_DEP_1)
	v_add_nc_u32_e32 v244, 0, v17
	v_dual_mov_b32 v67, v217 :: v_dual_lshlrev_b32 v0, 1, v249
	v_mov_b32_e32 v39, v217
	ds_store_b16 v244, v6 offset:512
	ds_store_b16 v244, v8 offset:768
	;; [unrolled: 1-line block ×6, first 2 shown]
	.loc	1 58 21                         ; attention_bwd.py:58:21 @[ attention_bwd.py:184:50 ]
	ds_store_b16 v244, v1 offset:2048
	ds_store_b16 v244, v3 offset:2304
	v_dual_mov_b32 v187, v217 :: v_dual_and_b32 v0, 32, v0
	v_dual_mov_b32 v50, v217 :: v_dual_mov_b32 v189, v217
	v_dual_mov_b32 v52, v217 :: v_dual_mov_b32 v51, v217
	;; [unrolled: 1-line block ×5, first 2 shown]
	v_dual_mov_b32 v198, v217 :: v_dual_add_nc_u32 v1, 0, v144
	.loc	1 47 25                         ; attention_bwd.py:47:25 @[ attention_bwd.py:184:50 ]
	v_add_co_u32 v0, s0, s0, v0
	.loc	1 48 21                         ; attention_bwd.py:48:21 @[ attention_bwd.py:184:50 ]
	ds_store_b16 v244, v2
	ds_store_b16 v244, v4 offset:256
	v_dual_mov_b32 v41, v217 :: v_dual_lshlrev_b32 v2, 6, v163
	v_add_nc_u32_e32 v229, v1, v163
	.loc	1 47 25                         ; attention_bwd.py:47:25 @[ attention_bwd.py:184:50 ]
	s_wait_alu depctr_va_sdst(0)
	v_add_co_ci_u32_e64 v1, null, s1, 0, s0
	v_add_co_u32 v146, vcc_lo, s12, v0
	v_add_co_u32 v147, s0, s14, v0
	s_wait_alu depctr_va_vcc(0)
	s_delay_alu instid0(VALU_DEP_3)
	v_add_co_ci_u32_e64 v149, null, s13, v1, vcc_lo
	v_add_co_u32 v0, vcc_lo, v214, v232
	v_lshlrev_b32_e32 v227, 1, v150
	s_wait_alu depctr_va_sdst(0)
	v_add_co_ci_u32_e64 v148, null, s15, v1, s0
	s_wait_alu depctr_va_vcc(0)
	v_add_co_ci_u32_e64 v1, null, v215, v233, vcc_lo
	v_add_co_u32 v3, vcc_lo, v0, s88
	v_add3_u32 v231, 0, v2, v227
	s_wait_alu depctr_va_vcc(0)
	s_delay_alu instid0(VALU_DEP_3)
	v_add_co_ci_u32_e64 v2, null, s89, v1, vcc_lo
	v_add_co_u32 v0, vcc_lo, v214, v239
	s_wait_alu depctr_va_vcc(0)
	v_add_co_ci_u32_e64 v1, null, v215, v240, vcc_lo
	.loc	1 58 21                         ; attention_bwd.py:58:21 @[ attention_bwd.py:184:50 ]
	ds_store_b16 v244, v5 offset:2560
	ds_store_b16 v244, v7 offset:2816
	;; [unrolled: 1-line block ×6, first 2 shown]
	.loc	1 47 25                         ; attention_bwd.py:47:25 @[ attention_bwd.py:184:50 ]
	v_add_co_u32 v5, vcc_lo, v0, s88
	s_wait_alu depctr_va_vcc(0)
	v_add_co_ci_u32_e64 v4, null, s89, v1, vcc_lo
	v_add_co_u32 v0, vcc_lo, v214, v237
	s_wait_alu depctr_va_vcc(0)
	v_add_co_ci_u32_e64 v1, null, v215, v238, vcc_lo
	v_dual_mov_b32 v33, v217 :: v_dual_mov_b32 v186, v217
	s_delay_alu instid0(VALU_DEP_3) | instskip(SKIP_1) | instid1(VALU_DEP_3)
	v_add_co_u32 v7, vcc_lo, v0, s88
	s_wait_alu depctr_va_vcc(0)
	v_add_co_ci_u32_e64 v6, null, s89, v1, vcc_lo
	v_add_co_u32 v0, vcc_lo, v214, v235
	s_wait_alu depctr_va_vcc(0)
	v_add_co_ci_u32_e64 v1, null, v215, v236, vcc_lo
	v_dual_mov_b32 v199, v217 :: v_dual_mov_b32 v34, v217
	v_dual_mov_b32 v201, v217 :: v_dual_mov_b32 v36, v217
	;; [unrolled: 1-line block ×9, first 2 shown]
	v_add_co_u32 v9, vcc_lo, v0, s88
	v_mov_b32_e32 v68, v217
	s_clause 0x2                            ; 20-byte Folded Spill
	scratch_store_b32 off, v17, off offset:1528
	scratch_store_b64 off, v[239:240], off offset:1552
	scratch_store_b64 off, v[237:238], off offset:1544
	v_dual_mov_b32 v15, v217 :: v_dual_mov_b32 v18, v217
	v_dual_mov_b32 v17, v217 :: v_dual_mov_b32 v20, v217
	;; [unrolled: 1-line block ×8, first 2 shown]
	s_wait_alu depctr_va_vcc(0)
	v_add_co_ci_u32_e64 v8, null, s89, v1, vcc_lo
	v_add_co_u32 v0, vcc_lo, v214, v241
	v_dual_mov_b32 v239, v57 :: v_dual_mov_b32 v232, v50
	v_dual_mov_b32 v238, v56 :: v_dual_mov_b32 v237, v55
	;; [unrolled: 1-line block ×5, first 2 shown]
	s_wait_alu depctr_va_vcc(0)
	v_add_co_ci_u32_e64 v1, null, v215, v242, vcc_lo
	v_dual_mov_b32 v54, v40 :: v_dual_mov_b32 v53, v39
	v_dual_mov_b32 v52, v38 :: v_dual_mov_b32 v51, v37
	;; [unrolled: 1-line block ×15, first 2 shown]
	v_add_co_u32 v11, vcc_lo, v0, s88
	s_wait_alu depctr_va_vcc(0)
	v_add_co_ci_u32_e64 v10, null, s89, v1, vcc_lo
	v_add_co_u32 v0, vcc_lo, v214, v247
	s_wait_alu depctr_va_vcc(0)
	v_add_co_ci_u32_e64 v1, null, v215, v248, vcc_lo
.Ltmp51:
	.loc	1 165 23                        ; attention_bwd.py:165:23
	v_or3_b32 v249, s2, v150, s58
	s_delay_alu instid0(VALU_DEP_3) | instskip(SKIP_1) | instid1(VALU_DEP_3)
.Ltmp52:
	.loc	1 47 25                         ; attention_bwd.py:47:25 @[ attention_bwd.py:184:50 ]
	v_add_co_u32 v13, vcc_lo, v0, s88
	s_wait_alu depctr_va_vcc(0)
	v_add_co_ci_u32_e64 v12, null, s89, v1, vcc_lo
	v_add_co_u32 v0, vcc_lo, v214, v151
	s_wait_alu depctr_va_vcc(0)
	v_add_co_ci_u32_e64 v1, null, v215, v152, vcc_lo
	v_mov_b32_e32 v64, v217
	s_delay_alu instid0(VALU_DEP_3) | instskip(SKIP_1) | instid1(VALU_DEP_3)
	v_add_co_u32 v15, vcc_lo, v0, s88
	s_wait_alu depctr_va_vcc(0)
	v_add_co_ci_u32_e64 v14, null, s89, v1, vcc_lo
	v_add_co_u32 v0, vcc_lo, v214, v153
	s_wait_alu depctr_va_vcc(0)
	v_add_co_ci_u32_e64 v1, null, v215, v154, vcc_lo
	v_mov_b32_e32 v80, v217
	s_delay_alu instid0(VALU_DEP_3) | instskip(SKIP_1) | instid1(VALU_DEP_3)
	v_add_co_u32 v16, vcc_lo, v0, s88
	s_wait_alu depctr_va_vcc(0)
	v_add_co_ci_u32_e64 v0, null, s89, v1, vcc_lo
	s_wait_alu depctr_sa_sdst(0)
	v_add_co_u32 v151, vcc_lo, s6, v245
	s_wait_alu depctr_va_vcc(0)
	v_add_co_ci_u32_e64 v152, null, s7, v246, vcc_lo
	v_add_co_u32 v153, vcc_lo, s10, v245
	s_wait_alu depctr_va_vcc(0)
	v_add_co_ci_u32_e64 v154, null, s11, v246, vcc_lo
	;; [unrolled: 3-line block ×5, first 2 shown]
	v_add_co_u32 v161, vcc_lo, s42, v245
	v_mov_b32_e32 v1, v216
	s_clause 0x7                            ; 36-byte Folded Spill
	scratch_store_b32 off, v163, off offset:1340
	scratch_store_b32 off, v150, off offset:1368
	;; [unrolled: 1-line block ×4, first 2 shown]
	scratch_store_b64 off, v[1:2], off offset:1360
	scratch_store_b32 off, v6, off offset:1484
	scratch_store_b32 off, v3, off offset:1472
	;; [unrolled: 1-line block ×3, first 2 shown]
	s_wait_alu depctr_va_vcc(0)
	v_add_co_ci_u32_e64 v162, null, s43, v246, vcc_lo
	v_add_co_u32 v163, vcc_lo, s8, v245
	s_wait_alu depctr_va_vcc(0)
	v_add_co_ci_u32_e64 v164, null, s9, v246, vcc_lo
	v_add_co_u32 v165, vcc_lo, s46, v245
	;; [unrolled: 3-line block ×10, first 2 shown]
	v_writelane_b32 v252, s20, 8
	v_dual_mov_b32 v66, v217 :: v_dual_mov_b32 v69, v217
	v_dual_mov_b32 v70, v217 :: v_dual_mov_b32 v71, v217
	v_mov_b32_e32 v82, v217
	v_writelane_b32 v252, s21, 9
	v_dual_mov_b32 v81, v217 :: v_dual_mov_b32 v84, v217
	v_dual_mov_b32 v83, v217 :: v_dual_mov_b32 v86, v217
	v_writelane_b32 v252, s22, 10
	v_dual_mov_b32 v85, v217 :: v_dual_mov_b32 v88, v217
	v_dual_mov_b32 v87, v217 :: v_dual_mov_b32 v90, v217
	v_dual_mov_b32 v89, v217 :: v_dual_mov_b32 v92, v217
	v_dual_mov_b32 v91, v217 :: v_dual_mov_b32 v94, v217
	v_dual_mov_b32 v93, v217 :: v_dual_mov_b32 v96, v217
	v_dual_mov_b32 v95, v217 :: v_dual_mov_b32 v98, v217
	v_dual_mov_b32 v97, v217 :: v_dual_mov_b32 v100, v217
	v_dual_mov_b32 v99, v217 :: v_dual_mov_b32 v102, v217
	v_dual_mov_b32 v101, v217 :: v_dual_mov_b32 v104, v217
	v_dual_mov_b32 v103, v217 :: v_dual_mov_b32 v106, v217
	v_dual_mov_b32 v105, v217 :: v_dual_mov_b32 v108, v217
	v_dual_mov_b32 v107, v217 :: v_dual_mov_b32 v110, v217
	v_dual_mov_b32 v109, v217 :: v_dual_mov_b32 v112, v217
	v_dual_mov_b32 v111, v217 :: v_dual_mov_b32 v114, v217
	v_dual_mov_b32 v113, v217 :: v_dual_mov_b32 v116, v217
	v_dual_mov_b32 v115, v217 :: v_dual_mov_b32 v118, v217
	v_dual_mov_b32 v117, v217 :: v_dual_mov_b32 v120, v217
	v_dual_mov_b32 v119, v217 :: v_dual_mov_b32 v122, v217
	v_dual_mov_b32 v121, v217 :: v_dual_mov_b32 v124, v217
	v_dual_mov_b32 v123, v217 :: v_dual_mov_b32 v126, v217
	v_dual_mov_b32 v125, v217 :: v_dual_mov_b32 v204, v217
	v_dual_mov_b32 v127, v217 :: v_dual_mov_b32 v206, v217
	v_dual_mov_b32 v205, v217 :: v_dual_mov_b32 v208, v217
	v_dual_mov_b32 v207, v217 :: v_dual_mov_b32 v210, v217
	v_dual_mov_b32 v183, v217 :: v_dual_mov_b32 v188, v217
	v_dual_mov_b32 v185, v217 :: v_dual_mov_b32 v190, v217
	v_dual_mov_b32 v195, v217 :: v_dual_mov_b32 v200, v217
	v_dual_mov_b32 v197, v217 :: v_dual_mov_b32 v202, v217
	v_add3_u32 v247, 0, v228, v227
	v_or_b32_e32 v150, 7, v216
.Ltmp53:
	.loc	1 165 23                        ; attention_bwd.py:165:23
	v_or_b32_e32 v248, 64, v249
	v_writelane_b32 v252, s23, 11
.Ltmp54:
	.loc	1 47 25                         ; attention_bwd.py:47:25 @[ attention_bwd.py:184:50 ]
	s_wait_alu depctr_va_vcc(0)
	v_add_co_ci_u32_e64 v182, null, s21, v2, vcc_lo
	s_clause 0xb                            ; 52-byte Folded Spill
	scratch_store_b32 off, v7, off offset:1488
	scratch_store_b32 off, v9, off offset:1496
	;; [unrolled: 1-line block ×9, first 2 shown]
	scratch_store_b64 off, v[241:242], off offset:1560
	scratch_store_b32 off, v16, off offset:1532
	scratch_store_b32 off, v0, off offset:1524
.LBB0_1:                                ; =>This Inner Loop Header: Depth=1
	.loc	1 72 19                         ; attention_bwd.py:72:19 @[ attention_bwd.py:184:50 ]
	v_add_co_u32 v0, vcc_lo, v181, s16
	s_wait_alu depctr_va_vcc(0)
	v_add_co_ci_u32_e64 v1, null, s17, v182, vcc_lo
	v_dual_mov_b32 v194, v136 :: v_dual_mov_b32 v193, v137
	v_dual_mov_b32 v192, v138 :: v_dual_mov_b32 v191, v139
	.loc	1 48 21                         ; attention_bwd.py:48:21 @[ attention_bwd.py:184:50 ]
	global_load_u16 v241, v[0:1], off
	.loc	1 72 19                         ; attention_bwd.py:72:19 @[ attention_bwd.py:184:50 ]
	v_add_co_u32 v0, vcc_lo, v179, s16
	s_wait_alu depctr_va_vcc(0)
	v_add_co_ci_u32_e64 v1, null, s17, v180, vcc_lo
	v_dual_mov_b32 v139, v140 :: v_dual_mov_b32 v138, v141
	v_dual_mov_b32 v137, v142 :: v_dual_mov_b32 v136, v143
	.loc	1 48 21                         ; attention_bwd.py:48:21 @[ attention_bwd.py:184:50 ]
	global_load_u16 v242, v[0:1], off
	;; [unrolled: 8-line block ×8, first 2 shown]
	v_dual_mov_b32 v239, v55 :: v_dual_mov_b32 v238, v54
	v_dual_mov_b32 v237, v53 :: v_dual_mov_b32 v236, v52
	;; [unrolled: 1-line block ×16, first 2 shown]
	v_mov_b32_e32 v79, v202
	v_dual_mov_b32 v17, v129 :: v_dual_mov_b32 v18, v130
	v_dual_mov_b32 v19, v131 :: v_dual_mov_b32 v20, v132
	;; [unrolled: 1-line block ×3, first 2 shown]
	v_mov_b32_e32 v23, v135
	.loc	1 57 36                         ; attention_bwd.py:57:36 @[ attention_bwd.py:184:50 ]
	v_cmp_ge_i32_e32 vcc_lo, v150, v249
	v_mov_b32_e32 v16, v128
	.loc	1 69 26                         ; attention_bwd.py:69:26 @[ attention_bwd.py:184:50 ]
	s_wait_storecnt 0x0
	s_wait_loadcnt_dscnt 0x0
	s_barrier_signal -1
	s_barrier_wait -1
	global_inv scope:SCOPE_SE
	.loc	1 66 24                         ; attention_bwd.py:66:24 @[ attention_bwd.py:184:50 ]
	scratch_load_b128 v[0:3], off, off offset:128 ; 16-byte Folded Reload
	ds_load_b128 v[140:143], v229 offset:2048
	ds_load_b128 v[203:206], v229 offset:2080
	ds_load_b128 v[207:210], v229 offset:2112
	ds_load_b128 v[211:214], v229 offset:2144
	scratch_load_b128 v[8:11], off, off offset:112 ; 16-byte Folded Reload
	s_wait_loadcnt_dscnt 0x103
	v_wmma_f32_16x16x16_f16 v[195:202], v[140:143], v[0:3], 0
	scratch_load_b128 v[0:3], off, off offset:160 ; 16-byte Folded Reload
	s_wait_loadcnt_dscnt 0x2
	v_wmma_f32_16x16x16_f16 v[195:202], v[203:206], v[0:3], v[195:202]
	scratch_load_b128 v[0:3], off, off offset:96 ; 16-byte Folded Reload
	s_wait_loadcnt_dscnt 0x1
	v_wmma_f32_16x16x16_f16 v[195:202], v[207:210], v[0:3], v[195:202]
	scratch_load_b128 v[0:3], off, off offset:48 ; 16-byte Folded Reload
	s_wait_loadcnt_dscnt 0x0
	v_wmma_f32_16x16x16_f16 v[195:202], v[211:214], v[0:3], v[195:202]
	s_delay_alu instid0(VALU_DEP_1) | instskip(NEXT) | instid1(VALU_DEP_2)
	.loc	1 67 26                         ; attention_bwd.py:67:26 @[ attention_bwd.py:184:50 ]
	v_dual_sub_f32 v0, v195, v194 :: v_dual_sub_f32 v1, v196, v193
	v_dual_sub_f32 v2, v197, v192 :: v_dual_sub_f32 v3, v198, v191
	s_delay_alu instid0(VALU_DEP_3) | instskip(NEXT) | instid1(VALU_DEP_4)
	v_sub_f32_e32 v6, v201, v137
	v_dual_sub_f32 v4, v199, v139 :: v_dual_sub_f32 v5, v200, v138
	v_sub_f32_e32 v7, v202, v136
	.loc	1 66 24                         ; attention_bwd.py:66:24 @[ attention_bwd.py:184:50 ]
	v_wmma_f32_16x16x16_f16 v[195:202], v[140:143], v[8:11], 0
	scratch_load_b128 v[8:11], off, off offset:144 ; 16-byte Folded Reload
	s_wait_loadcnt 0x0
	v_wmma_f32_16x16x16_f16 v[195:202], v[203:206], v[8:11], v[195:202]
	scratch_load_b128 v[8:11], off, off offset:80 ; 16-byte Folded Reload
	s_wait_loadcnt 0x0
	v_wmma_f32_16x16x16_f16 v[195:202], v[207:210], v[8:11], v[195:202]
	s_clause 0x1                            ; 32-byte Folded Reload
	scratch_load_b128 v[8:11], off, off offset:64
	scratch_load_b128 v[207:210], off, off
	s_wait_loadcnt 0x1
	v_wmma_f32_16x16x16_f16 v[195:202], v[211:214], v[8:11], v[195:202]
	s_delay_alu instid0(VALU_DEP_1) | instskip(NEXT) | instid1(VALU_DEP_2)
	.loc	1 67 26                         ; attention_bwd.py:67:26 @[ attention_bwd.py:184:50 ]
	v_dual_sub_f32 v11, v198, v191 :: v_dual_sub_f32 v14, v201, v137
	v_dual_sub_f32 v12, v199, v139 :: v_dual_sub_f32 v13, v200, v138
	s_delay_alu instid0(VALU_DEP_3)
	v_sub_f32_e32 v15, v202, v136
	.loc	1 52 24                         ; attention_bwd.py:52:24 @[ attention_bwd.py:184:50 ]
	scratch_load_b128 v[199:202], off, off offset:240 ; 16-byte Folded Reload
	.loc	1 67 26                         ; attention_bwd.py:67:26 @[ attention_bwd.py:184:50 ]
	v_dual_sub_f32 v8, v195, v194 :: v_dual_sub_f32 v9, v196, v193
	v_sub_f32_e32 v10, v197, v192
	.loc	1 48 21                         ; attention_bwd.py:48:21 @[ attention_bwd.py:184:50 ]
	ds_load_u16 v136, v247
	ds_load_u16 v137, v247 offset:64
	ds_load_u16 v138, v247 offset:128
	;; [unrolled: 1-line block ×15, first 2 shown]
	s_wait_dscnt 0xf
	ds_load_u16_d16_hi v136, v247 offset:32
	s_wait_dscnt 0xf
	ds_load_u16_d16_hi v137, v247 offset:96
	;; [unrolled: 2-line block ×16, first 2 shown]
	.loc	1 52 24                         ; attention_bwd.py:52:24 @[ attention_bwd.py:184:50 ]
	s_wait_loadcnt_dscnt 0xc
	v_wmma_f32_16x16x16_f16 v[128:135], v[136:139], v[199:202], 0
	scratch_load_b128 v[199:202], off, off offset:16 ; 16-byte Folded Reload
	s_wait_loadcnt_dscnt 0x8
	v_wmma_f32_16x16x16_f16 v[128:135], v[140:143], v[199:202], v[128:135]
	scratch_load_b128 v[199:202], off, off offset:224 ; 16-byte Folded Reload
	;; [unrolled: 3-line block ×3, first 2 shown]
	s_wait_loadcnt_dscnt 0x0
	v_wmma_f32_16x16x16_f16 v[128:135], v[195:198], v[199:202], v[128:135]
	s_delay_alu instid0(VALU_DEP_1) | instskip(NEXT) | instid1(VALU_DEP_2)
	.loc	1 53 32                         ; attention_bwd.py:53:32 @[ attention_bwd.py:184:50 ]
	v_dual_sub_f32 v199, v128, v16 :: v_dual_sub_f32 v202, v131, v19
	v_dual_sub_f32 v200, v129, v17 :: v_dual_sub_f32 v201, v130, v18
	s_delay_alu instid0(VALU_DEP_3) | instskip(NEXT) | instid1(VALU_DEP_4)
	v_dual_sub_f32 v204, v133, v21 :: v_dual_sub_f32 v203, v132, v20
	v_dual_sub_f32 v206, v135, v23 :: v_dual_sub_f32 v205, v134, v22
	.loc	1 52 24                         ; attention_bwd.py:52:24 @[ attention_bwd.py:184:50 ]
	v_wmma_f32_16x16x16_f16 v[128:135], v[136:139], v[207:210], 0
	scratch_load_b128 v[136:139], off, off offset:32 ; 16-byte Folded Reload
	s_wait_loadcnt 0x0
	v_wmma_f32_16x16x16_f16 v[128:135], v[140:143], v[136:139], v[128:135]
	scratch_load_b128 v[136:139], off, off offset:208 ; 16-byte Folded Reload
	s_wait_loadcnt 0x0
	;; [unrolled: 3-line block ×3, first 2 shown]
	v_wmma_f32_16x16x16_f16 v[128:135], v[195:198], v[136:139], v[128:135]
	s_delay_alu instid0(VALU_DEP_1) | instskip(NEXT) | instid1(VALU_DEP_2)
	.loc	1 53 32                         ; attention_bwd.py:53:32 @[ attention_bwd.py:184:50 ]
	v_dual_sub_f32 v23, v135, v23 :: v_dual_add_nc_u32 v196, -1, v150
	v_dual_sub_f32 v16, v128, v16 :: v_dual_sub_f32 v19, v131, v19
	s_delay_alu instid0(VALU_DEP_3)
	v_sub_f32_e32 v20, v132, v20
	.loc	1 53 26 is_stmt 0               ; attention_bwd.py:53:26 @[ attention_bwd.py:184:50 ]
	v_exp_f32_e32 v128, v206
	.loc	1 53 32                         ; attention_bwd.py:53:32 @[ attention_bwd.py:184:50 ]
	v_dual_sub_f32 v17, v129, v17 :: v_dual_sub_f32 v18, v130, v18
	.loc	1 53 26                         ; attention_bwd.py:53:26 @[ attention_bwd.py:184:50 ]
	v_exp_f32_e32 v129, v204
	.loc	1 71 18 is_stmt 1               ; attention_bwd.py:71:18 @[ attention_bwd.py:184:50 ]
	v_add_nc_u32_e32 v195, -2, v150
	.loc	1 53 26                         ; attention_bwd.py:53:26 @[ attention_bwd.py:184:50 ]
	v_exp_f32_e32 v130, v203
	v_exp_f32_e32 v131, v205
	;; [unrolled: 1-line block ×3, first 2 shown]
	.loc	1 71 18                         ; attention_bwd.py:71:18 @[ attention_bwd.py:184:50 ]
	v_add_nc_u32_e32 v197, -3, v150
	.loc	1 57 36                         ; attention_bwd.py:57:36 @[ attention_bwd.py:184:50 ]
	v_cmp_ge_i32_e64 s1, v196, v249
	s_wait_alu depctr_va_vcc(0)
	v_cndmask_b32_e32 v204, 0, v128, vcc_lo
	v_cmp_ge_i32_e64 s0, v195, v249
	.loc	1 53 32                         ; attention_bwd.py:53:32 @[ attention_bwd.py:184:50 ]
	v_dual_sub_f32 v21, v133, v21 :: v_dual_sub_f32 v22, v134, v22
	.loc	1 57 36                         ; attention_bwd.py:57:36 @[ attention_bwd.py:184:50 ]
	v_cmp_ge_i32_e64 s2, v197, v249
	.loc	1 58 21                         ; attention_bwd.py:58:21 @[ attention_bwd.py:184:50 ]
	ds_load_u16 v134, v231 offset:2656
	ds_load_u16 v133, v231 offset:2400
	;; [unrolled: 1-line block ×14, first 2 shown]
	.loc	1 57 36                         ; attention_bwd.py:57:36 @[ attention_bwd.py:184:50 ]
	s_wait_alu depctr_va_sdst(0)
	v_cndmask_b32_e64 v203, 0, v131, s1
	v_cndmask_b32_e64 v205, 0, v129, s0
	.loc	1 53 26                         ; attention_bwd.py:53:26 @[ attention_bwd.py:184:50 ]
	v_exp_f32_e32 v21, v21
	.loc	1 57 36                         ; attention_bwd.py:57:36 @[ attention_bwd.py:184:50 ]
	v_cndmask_b32_e64 v198, 0, v130, s2
	.loc	1 61 21                         ; attention_bwd.py:61:21 @[ attention_bwd.py:184:50 ]
	v_cvt_f16_f32_e64 v130, v204
	v_cvt_f16_f32_e64 v129, v203
	;; [unrolled: 1-line block ×3, first 2 shown]
	.loc	1 53 26                         ; attention_bwd.py:53:26 @[ attention_bwd.py:184:50 ]
	v_exp_f32_e32 v22, v22
	.loc	1 61 21                         ; attention_bwd.py:61:21 @[ attention_bwd.py:184:50 ]
	v_cvt_f16_f32_e64 v128, v198
	.loc	1 53 26                         ; attention_bwd.py:53:26 @[ attention_bwd.py:184:50 ]
	v_exp_f32_e32 v23, v23
	.loc	1 62 26                         ; attention_bwd.py:62:26 @[ attention_bwd.py:184:50 ]
	v_pack_b32_f16 v131, v129, v130
	.loc	1 53 26                         ; attention_bwd.py:53:26 @[ attention_bwd.py:184:50 ]
	v_exp_f32_e32 v129, v202
	.loc	1 57 36                         ; attention_bwd.py:57:36 @[ attention_bwd.py:184:50 ]
	v_cmp_ge_i32_e64 s1, v196, v248
	.loc	1 62 26                         ; attention_bwd.py:62:26 @[ attention_bwd.py:184:50 ]
	v_pack_b32_f16 v130, v128, v132
	.loc	1 53 26                         ; attention_bwd.py:53:26 @[ attention_bwd.py:184:50 ]
	v_exp_f32_e32 v128, v201
	.loc	1 71 18                         ; attention_bwd.py:71:18 @[ attention_bwd.py:184:50 ]
	v_add_nc_u32_e32 v201, -4, v150
	.loc	1 53 26                         ; attention_bwd.py:53:26 @[ attention_bwd.py:184:50 ]
	v_exp_f32_e32 v132, v200
	.loc	1 57 36                         ; attention_bwd.py:57:36 @[ attention_bwd.py:184:50 ]
	v_cmp_ge_i32_e64 s2, v150, v248
	.loc	1 53 26                         ; attention_bwd.py:53:26 @[ attention_bwd.py:184:50 ]
	v_exp_f32_e32 v19, v19
	v_exp_f32_e32 v18, v18
	.loc	1 57 36                         ; attention_bwd.py:57:36 @[ attention_bwd.py:184:50 ]
	v_cmp_ge_i32_e32 vcc_lo, v201, v249
	.loc	1 71 18                         ; attention_bwd.py:71:18 @[ attention_bwd.py:184:50 ]
	v_add_nc_u32_e32 v202, -5, v150
	.loc	1 57 36                         ; attention_bwd.py:57:36 @[ attention_bwd.py:184:50 ]
	s_wait_alu depctr_va_sdst(0)
	v_cndmask_b32_e64 v22, 0, v22, s1
	v_cndmask_b32_e64 v23, 0, v23, s2
	.loc	1 53 26                         ; attention_bwd.py:53:26 @[ attention_bwd.py:184:50 ]
	v_exp_f32_e32 v17, v17
	.loc	1 57 36                         ; attention_bwd.py:57:36 @[ attention_bwd.py:184:50 ]
	s_wait_alu depctr_va_vcc(0)
	v_cndmask_b32_e32 v207, 0, v129, vcc_lo
	v_cmp_ge_i32_e64 s0, v202, v249
	.loc	1 53 26                         ; attention_bwd.py:53:26 @[ attention_bwd.py:184:50 ]
	v_exp_f32_e32 v16, v16
	s_delay_alu instid0(VALU_DEP_2) | instskip(SKIP_1) | instid1(VALU_DEP_2)
	.loc	1 61 21                         ; attention_bwd.py:61:21 @[ attention_bwd.py:184:50 ]
	v_cvt_f16_f32_e64 v129, v207
	.loc	1 57 36                         ; attention_bwd.py:57:36 @[ attention_bwd.py:184:50 ]
	s_wait_alu depctr_va_sdst(0)
	v_cndmask_b32_e64 v206, 0, v128, s0
	s_delay_alu instid0(VALU_DEP_1) | instskip(NEXT) | instid1(VALU_DEP_1)
	.loc	1 61 21                         ; attention_bwd.py:61:21 @[ attention_bwd.py:184:50 ]
	v_cvt_f16_f32_e64 v128, v206
	.loc	1 62 26                         ; attention_bwd.py:62:26 @[ attention_bwd.py:184:50 ]
	v_pack_b32_f16 v129, v128, v129
	.loc	1 53 26                         ; attention_bwd.py:53:26 @[ attention_bwd.py:184:50 ]
	v_exp_f32_e32 v128, v199
	.loc	1 71 18                         ; attention_bwd.py:71:18 @[ attention_bwd.py:184:50 ]
	v_add_nc_u32_e32 v199, -6, v150
	s_delay_alu instid0(VALU_DEP_1) | instskip(SKIP_3) | instid1(VALU_DEP_2)
	.loc	1 57 36                         ; attention_bwd.py:57:36 @[ attention_bwd.py:184:50 ]
	v_cmp_ge_i32_e32 vcc_lo, v199, v249
	.loc	1 71 18                         ; attention_bwd.py:71:18 @[ attention_bwd.py:184:50 ]
	v_add_nc_u32_e32 v200, -7, v150
	.loc	1 57 36                         ; attention_bwd.py:57:36 @[ attention_bwd.py:184:50 ]
	s_wait_alu depctr_va_vcc(0)
	v_dual_cndmask_b32 v209, 0, v132 :: v_dual_add_nc_u32 v150, 16, v150
	v_cmp_ge_i32_e64 s0, v200, v249
	v_cmp_ge_i32_e32 vcc_lo, v197, v248
	s_delay_alu instid0(VALU_DEP_3) | instskip(SKIP_1) | instid1(VALU_DEP_3)
	.loc	1 61 21                         ; attention_bwd.py:61:21 @[ attention_bwd.py:184:50 ]
	v_cvt_f16_f32_e64 v132, v209
	.loc	1 57 36                         ; attention_bwd.py:57:36 @[ attention_bwd.py:184:50 ]
	s_wait_alu depctr_va_sdst(0)
	v_cndmask_b32_e64 v208, 0, v128, s0
	v_cmp_ge_i32_e64 s0, v195, v248
	s_wait_alu depctr_va_vcc(0)
	v_cndmask_b32_e32 v20, 0, v20, vcc_lo
	v_cmp_ge_i32_e32 vcc_lo, v201, v248
	.loc	1 61 21                         ; attention_bwd.py:61:21 @[ attention_bwd.py:184:50 ]
	v_cvt_f16_f32_e64 v128, v208
	.loc	1 57 36                         ; attention_bwd.py:57:36 @[ attention_bwd.py:184:50 ]
	s_wait_alu depctr_va_sdst(0)
	v_cndmask_b32_e64 v21, 0, v21, s0
	v_cmp_ge_i32_e64 s0, v202, v248
	s_wait_alu depctr_va_vcc(0)
	v_cndmask_b32_e32 v19, 0, v19, vcc_lo
	v_cmp_ge_i32_e32 vcc_lo, v199, v248
	.loc	1 62 26                         ; attention_bwd.py:62:26 @[ attention_bwd.py:184:50 ]
	v_pack_b32_f16 v128, v128, v132
	.loc	1 58 21                         ; attention_bwd.py:58:21 @[ attention_bwd.py:184:50 ]
	s_wait_dscnt 0xc
	ds_load_u16_d16_hi v133, v231 offset:2528
	ds_load_u16 v132, v231 offset:2144
	ds_load_u16 v136, v231 offset:2080
	s_wait_dscnt 0x7
	ds_load_u16_d16_hi v193, v231 offset:2752
	ds_load_u16_d16_hi v194, v231 offset:3008
	;; [unrolled: 1-line block ×4, first 2 shown]
	s_wait_dscnt 0x9
	ds_load_u16_d16_hi v141, v231 offset:2432
	ds_load_u16_d16_hi v140, v231 offset:2176
	s_wait_dscnt 0x7
	ds_load_u16_d16_hi v132, v231 offset:2272
	ds_load_u16_d16_hi v137, v231 offset:2464
	;; [unrolled: 1-line block ×6, first 2 shown]
	s_wait_dscnt 0xc
	ds_load_u16_d16_hi v136, v231 offset:2208
	ds_load_u16_d16_hi v191, v231 offset:2240
	;; [unrolled: 1-line block ×3, first 2 shown]
	.loc	1 61 21                         ; attention_bwd.py:61:21 @[ attention_bwd.py:184:50 ]
	v_cvt_f16_f32_e64 v195, v21
	.loc	1 57 36                         ; attention_bwd.py:57:36 @[ attention_bwd.py:184:50 ]
	s_wait_alu depctr_va_sdst(0)
	v_cndmask_b32_e64 v18, 0, v18, s0
	v_cmp_ge_i32_e64 s0, v200, v248
	s_wait_alu depctr_va_vcc(0)
	v_cndmask_b32_e32 v17, 0, v17, vcc_lo
	.loc	1 62 26                         ; attention_bwd.py:62:26 @[ attention_bwd.py:184:50 ]
	s_wait_dscnt 0x9
	v_wmma_f32_16x16x16_f16 v[217:224], v[140:143], v[128:131], v[217:224]
	.loc	1 57 36                         ; attention_bwd.py:57:36 @[ attention_bwd.py:184:50 ]
	s_wait_alu depctr_va_sdst(0)
	v_cndmask_b32_e64 v16, 0, v16, s0
	.loc	1 62 26                         ; attention_bwd.py:62:26 @[ attention_bwd.py:184:50 ]
	s_wait_dscnt 0x2
	v_wmma_f32_16x16x16_f16 v[64:71], v[136:139], v[128:131], v[64:71]
	s_wait_dscnt 0x1
	v_wmma_f32_16x16x16_f16 v[80:87], v[191:194], v[128:131], v[80:87]
	;; [unrolled: 2-line block ×3, first 2 shown]
	.loc	1 61 21                         ; attention_bwd.py:61:21 @[ attention_bwd.py:184:50 ]
	v_cvt_f16_f32_e64 v128, v20
	v_cvt_f16_f32_e64 v129, v22
	;; [unrolled: 1-line block ×3, first 2 shown]
	s_delay_alu instid0(VALU_DEP_1) | instskip(NEXT) | instid1(VALU_DEP_4)
	.loc	1 62 26                         ; attention_bwd.py:62:26 @[ attention_bwd.py:184:50 ]
	v_pack_b32_f16 v131, v129, v130
	v_pack_b32_f16 v130, v128, v195
	.loc	1 61 21                         ; attention_bwd.py:61:21 @[ attention_bwd.py:184:50 ]
	v_cvt_f16_f32_e64 v128, v18
	v_cvt_f16_f32_e64 v129, v19
	;; [unrolled: 1-line block ×3, first 2 shown]
	s_delay_alu instid0(VALU_DEP_2) | instskip(SKIP_1) | instid1(VALU_DEP_1)
	.loc	1 62 26                         ; attention_bwd.py:62:26 @[ attention_bwd.py:184:50 ]
	v_pack_b32_f16 v129, v128, v129
	.loc	1 61 21                         ; attention_bwd.py:61:21 @[ attention_bwd.py:184:50 ]
	v_cvt_f16_f32_e64 v128, v16
	.loc	1 62 26                         ; attention_bwd.py:62:26 @[ attention_bwd.py:184:50 ]
	v_pack_b32_f16 v128, v128, v195
	s_delay_alu instid0(VALU_DEP_1)
	v_wmma_f32_16x16x16_f16 v[96:103], v[140:143], v[128:131], v[96:103]
	v_wmma_f32_16x16x16_f16 v[104:111], v[136:139], v[128:131], v[104:111]
	;; [unrolled: 1-line block ×4, first 2 shown]
	.loc	1 68 21                         ; attention_bwd.py:68:21 @[ attention_bwd.py:184:50 ]
	v_fma_mixlo_f16 v131, v203, v6, 0
	v_fma_mixlo_f16 v130, v198, v4, 0
	;; [unrolled: 1-line block ×4, first 2 shown]
	v_mov_b32_e32 v202, v79
	.loc	1 69 26                         ; attention_bwd.py:69:26 @[ attention_bwd.py:184:50 ]
	v_fma_mixhi_f16 v131, v204, v7, 0
	v_fma_mixhi_f16 v130, v205, v5, 0
	;; [unrolled: 1-line block ×4, first 2 shown]
	v_dual_mov_b32 v211, v39 :: v_dual_mov_b32 v204, v32
	v_dual_mov_b32 v201, v78 :: v_dual_mov_b32 v200, v77
	;; [unrolled: 1-line block ×4, first 2 shown]
	v_mov_b32_e32 v208, v36
	v_dual_mov_b32 v196, v73 :: v_dual_mov_b32 v195, v72
	v_mov_b32_e32 v206, v34
	v_dual_mov_b32 v72, v225 :: v_dual_mov_b32 v209, v37
	;; [unrolled: 2-line block ×3, first 2 shown]
	v_dual_mov_b32 v33, v49 :: v_dual_mov_b32 v38, v54
	v_dual_mov_b32 v34, v50 :: v_dual_mov_b32 v35, v51
	;; [unrolled: 1-line block ×7, first 2 shown]
	v_mov_b32_e32 v55, v239
	v_dual_mov_b32 v239, v31 :: v_dual_mov_b32 v232, v24
	v_dual_mov_b32 v238, v30 :: v_dual_mov_b32 v237, v29
	;; [unrolled: 1-line block ×5, first 2 shown]
	v_mov_b32_e32 v30, v46
	v_dual_mov_b32 v26, v42 :: v_dual_mov_b32 v27, v43
	v_dual_mov_b32 v28, v44 :: v_dual_mov_b32 v29, v45
	;; [unrolled: 1-line block ×3, first 2 shown]
	v_dual_mov_b32 v43, v59 :: v_dual_add_nc_u32 v0, v226, v72
	ds_load_b128 v[132:135], v0
	ds_load_b128 v[136:139], v0 offset:512
	ds_load_b128 v[140:143], v0 offset:1024
	;; [unrolled: 1-line block ×3, first 2 shown]
	v_dual_mov_b32 v41, v57 :: v_dual_mov_b32 v46, v62
	v_mov_b32_e32 v42, v58
	v_dual_mov_b32 v44, v60 :: v_dual_mov_b32 v45, v61
	v_mov_b32_e32 v47, v63
	.loc	1 51 24                         ; attention_bwd.py:51:24 @[ attention_bwd.py:184:50 ]
	v_add_co_u32 v0, vcc_lo, v146, s4
	s_wait_alu depctr_va_vcc(0)
	v_add_co_ci_u32_e64 v1, null, s5, v149, vcc_lo
	.loc	1 69 26                         ; attention_bwd.py:69:26 @[ attention_bwd.py:184:50 ]
	s_wait_dscnt 0x3
	v_wmma_f32_16x16x16_f16 v[204:211], v[132:135], v[128:131], v[204:211]
	s_wait_dscnt 0x2
	v_wmma_f32_16x16x16_f16 v[24:31], v[136:139], v[128:131], v[24:31]
	;; [unrolled: 2-line block ×4, first 2 shown]
	.loc	1 68 21                         ; attention_bwd.py:68:21 @[ attention_bwd.py:184:50 ]
	v_fma_mixlo_f16 v131, v22, v14, 0
	v_fma_mixlo_f16 v130, v20, v12, 0
	;; [unrolled: 1-line block ×4, first 2 shown]
	s_delay_alu instid0(VALU_DEP_4) | instskip(NEXT) | instid1(VALU_DEP_4)
	.loc	1 69 26                         ; attention_bwd.py:69:26 @[ attention_bwd.py:184:50 ]
	v_fma_mixhi_f16 v131, v23, v15, 0
	v_fma_mixhi_f16 v130, v21, v13, 0
	s_delay_alu instid0(VALU_DEP_4) | instskip(NEXT) | instid1(VALU_DEP_4)
	v_fma_mixhi_f16 v129, v19, v11, 0
	v_fma_mixhi_f16 v128, v17, v9, 0
	s_delay_alu instid0(VALU_DEP_1)
	v_wmma_f32_16x16x16_f16 v[183:190], v[132:135], v[128:131], v[183:190]
	v_wmma_f32_16x16x16_f16 v[232:239], v[136:139], v[128:131], v[232:239]
	;; [unrolled: 1-line block ×4, first 2 shown]
	.loc	1 51 20                         ; attention_bwd.py:51:20 @[ attention_bwd.py:184:50 ]
	s_clause 0x1
	global_load_b128 v[128:131], v[0:1], off offset:64
	global_load_b128 v[132:135], v[0:1], off offset:80
	.loc	1 64 25                         ; attention_bwd.py:64:25 @[ attention_bwd.py:184:50 ]
	v_add_co_u32 v0, vcc_lo, v147, s4
	s_wait_alu depctr_va_vcc(0)
	v_add_co_ci_u32_e64 v1, null, s5, v148, vcc_lo
	.loc	1 64 21 is_stmt 0               ; attention_bwd.py:64:21 @[ attention_bwd.py:184:50 ]
	s_clause 0x1
	global_load_b128 v[136:139], v[0:1], off offset:64
	global_load_b128 v[140:143], v[0:1], off offset:80
	.loc	1 73 19 is_stmt 1               ; attention_bwd.py:73:19 @[ attention_bwd.py:184:50 ]
	v_add_co_u32 v0, vcc_lo, v165, s16
	s_wait_alu depctr_va_vcc(0)
	v_add_co_ci_u32_e64 v1, null, s17, v166, vcc_lo
	.loc	1 47 25                         ; attention_bwd.py:47:25 @[ attention_bwd.py:184:50 ]
	s_add_nc_u64 s[4:5], s[4:5], 64
	s_wait_alu depctr_sa_sdst(0)
	s_cmp_lg_u32 s4, 0x1c0
	.loc	1 58 21                         ; attention_bwd.py:58:21 @[ attention_bwd.py:184:50 ]
	global_load_u16 v2, v[0:1], off
	.loc	1 73 19                         ; attention_bwd.py:73:19 @[ attention_bwd.py:184:50 ]
	v_add_co_u32 v0, vcc_lo, v163, s16
	s_wait_alu depctr_va_vcc(0)
	v_add_co_ci_u32_e64 v1, null, s17, v164, vcc_lo
	.loc	1 58 21                         ; attention_bwd.py:58:21 @[ attention_bwd.py:184:50 ]
	global_load_u16 v3, v[0:1], off
	.loc	1 73 19                         ; attention_bwd.py:73:19 @[ attention_bwd.py:184:50 ]
	v_add_co_u32 v0, vcc_lo, v161, s16
	s_wait_alu depctr_va_vcc(0)
	v_add_co_ci_u32_e64 v1, null, s17, v162, vcc_lo
	;; [unrolled: 6-line block ×7, first 2 shown]
	.loc	1 47 25                         ; attention_bwd.py:47:25 @[ attention_bwd.py:184:50 ]
	v_add_co_u32 v151, vcc_lo, v151, s88
	s_wait_alu depctr_va_vcc(0)
	v_add_co_ci_u32_e64 v152, null, s89, v152, vcc_lo
	.loc	1 58 21                         ; attention_bwd.py:58:21 @[ attention_bwd.py:184:50 ]
	global_load_u16 v0, v[0:1], off
	.loc	1 47 25                         ; attention_bwd.py:47:25 @[ attention_bwd.py:184:50 ]
	v_add_co_u32 v153, vcc_lo, v153, s88
	s_wait_alu depctr_va_vcc(0)
	v_add_co_ci_u32_e64 v154, null, s89, v154, vcc_lo
	v_add_co_u32 v155, vcc_lo, v155, s88
	s_wait_alu depctr_va_vcc(0)
	v_add_co_ci_u32_e64 v156, null, s89, v156, vcc_lo
	;; [unrolled: 3-line block ×15, first 2 shown]
	.loc	1 48 21                         ; attention_bwd.py:48:21 @[ attention_bwd.py:184:50 ]
	s_wait_loadcnt 0x0
	s_barrier_signal -1
	s_barrier_wait -1
	global_inv scope:SCOPE_SE
	ds_store_b16 v244, v241
	ds_store_b16 v244, v242 offset:256
	ds_store_b16 v244, v145 offset:512
	;; [unrolled: 1-line block ×7, first 2 shown]
	.loc	1 58 21                         ; attention_bwd.py:58:21 @[ attention_bwd.py:184:50 ]
	ds_store_b16 v244, v2 offset:2048
	ds_store_b16 v244, v3 offset:2304
	;; [unrolled: 1-line block ×8, first 2 shown]
	.loc	1 47 25                         ; attention_bwd.py:47:25 @[ attention_bwd.py:184:50 ]
	s_cbranch_scc1 .LBB0_1
; %bb.2:
	.loc	1 69 26                         ; attention_bwd.py:69:26 @[ attention_bwd.py:184:50 ]
	s_wait_loadcnt_dscnt 0x0
	s_barrier_signal -1
	v_add_nc_u32_e32 v203, 0, v72
.Ltmp55:
	.loc	1 188 19                        ; attention_bwd.py:188:19
	s_add_co_i32 s69, s58, 0x80
.Ltmp56:
	.loc	1 69 26                         ; attention_bwd.py:69:26 @[ attention_bwd.py:184:50 ]
	s_barrier_wait -1
	global_inv scope:SCOPE_SE
	scratch_load_b128 v[0:3], off, off offset:240 ; 16-byte Folded Reload
	.loc	1 48 21                         ; attention_bwd.py:48:21 @[ attention_bwd.py:184:50 ]
	ds_load_u16 v154, v247
	ds_load_u16 v155, v247 offset:64
	ds_load_u16 v156, v247 offset:128
	;; [unrolled: 1-line block ×15, first 2 shown]
	s_wait_dscnt 0xf
	ds_load_u16_d16_hi v154, v247 offset:32
	s_wait_dscnt 0xf
	ds_load_u16_d16_hi v155, v247 offset:96
	;; [unrolled: 2-line block ×16, first 2 shown]
	.loc	1 52 24                         ; attention_bwd.py:52:24 @[ attention_bwd.py:184:50 ]
	s_clause 0x2                            ; 48-byte Folded Reload
	scratch_load_b128 v[8:11], off, off
	scratch_load_b128 v[72:75], off, off offset:112
	scratch_load_b128 v[16:19], off, off offset:128
	s_wait_loadcnt_dscnt 0x30c
	v_wmma_f32_16x16x16_f16 v[146:153], v[154:157], v[0:3], 0
	scratch_load_b128 v[0:3], off, off offset:16 ; 16-byte Folded Reload
	s_wait_loadcnt_dscnt 0x8
	v_wmma_f32_16x16x16_f16 v[146:153], v[158:161], v[0:3], v[146:153]
	scratch_load_b128 v[0:3], off, off offset:224 ; 16-byte Folded Reload
	;; [unrolled: 3-line block ×3, first 2 shown]
	s_wait_loadcnt_dscnt 0x0
	v_wmma_f32_16x16x16_f16 v[146:153], v[166:169], v[0:3], v[146:153]
	s_delay_alu instid0(VALU_DEP_1) | instskip(NEXT) | instid1(VALU_DEP_2)
	.loc	1 53 32                         ; attention_bwd.py:53:32 @[ attention_bwd.py:184:50 ]
	v_dual_sub_f32 v0, v146, v128 :: v_dual_sub_f32 v1, v147, v129
	v_dual_sub_f32 v2, v148, v130 :: v_dual_sub_f32 v3, v149, v131
	s_delay_alu instid0(VALU_DEP_3) | instskip(NEXT) | instid1(VALU_DEP_4)
	v_dual_sub_f32 v4, v150, v132 :: v_dual_sub_f32 v5, v151, v133
	v_dual_sub_f32 v6, v152, v134 :: v_dual_sub_f32 v7, v153, v135
	.loc	1 52 24                         ; attention_bwd.py:52:24 @[ attention_bwd.py:184:50 ]
	v_wmma_f32_16x16x16_f16 v[146:153], v[154:157], v[8:11], 0
	scratch_load_b128 v[8:11], off, off offset:32 ; 16-byte Folded Reload
	.loc	1 53 26                         ; attention_bwd.py:53:26 @[ attention_bwd.py:184:50 ]
	v_exp_f32_e32 v4, v4
	v_exp_f32_e32 v6, v6
	;; [unrolled: 1-line block ×8, first 2 shown]
	.loc	1 52 24                         ; attention_bwd.py:52:24 @[ attention_bwd.py:184:50 ]
	s_wait_loadcnt 0x0
	v_wmma_f32_16x16x16_f16 v[146:153], v[158:161], v[8:11], v[146:153]
	scratch_load_b128 v[8:11], off, off offset:208 ; 16-byte Folded Reload
	s_wait_loadcnt 0x0
	v_wmma_f32_16x16x16_f16 v[146:153], v[162:165], v[8:11], v[146:153]
	scratch_load_b128 v[8:11], off, off offset:176 ; 16-byte Folded Reload
	s_wait_loadcnt 0x0
	v_wmma_f32_16x16x16_f16 v[146:153], v[166:169], v[8:11], v[146:153]
	s_delay_alu instid0(VALU_DEP_1) | instskip(NEXT) | instid1(VALU_DEP_2)
	.loc	1 53 32                         ; attention_bwd.py:53:32 @[ attention_bwd.py:184:50 ]
	v_dual_sub_f32 v8, v146, v128 :: v_dual_sub_f32 v9, v147, v129
	v_dual_sub_f32 v10, v148, v130 :: v_dual_sub_f32 v11, v149, v131
	s_delay_alu instid0(VALU_DEP_3)
	v_dual_sub_f32 v14, v152, v134 :: v_dual_sub_f32 v15, v153, v135
	.loc	1 58 21                         ; attention_bwd.py:58:21 @[ attention_bwd.py:184:50 ]
	ds_load_u16 v147, v231 offset:2400
	ds_load_u16 v149, v231 offset:2912
	;; [unrolled: 1-line block ×6, first 2 shown]
	s_wait_dscnt 0x5
	ds_load_u16_d16_hi v147, v231 offset:2528
	ds_load_u16 v160, v231 offset:2624
	s_wait_dscnt 0x0
	ds_load_u16_d16_hi v160, v231 offset:2752
	ds_load_u16_d16_hi v153, v231 offset:2944
	ds_load_u16 v157, v231 offset:2848
	ds_load_u16_d16_hi v149, v231 offset:3040
	.loc	1 66 24                         ; attention_bwd.py:66:24 @[ attention_bwd.py:184:50 ]
	ds_load_b128 v[161:164], v229 offset:2048
	ds_load_b128 v[165:168], v229 offset:2080
	;; [unrolled: 1-line block ×3, first 2 shown]
	.loc	1 53 32                         ; attention_bwd.py:53:32 @[ attention_bwd.py:184:50 ]
	v_dual_sub_f32 v12, v150, v132 :: v_dual_sub_f32 v13, v151, v133
	.loc	1 53 26 is_stmt 0               ; attention_bwd.py:53:26 @[ attention_bwd.py:184:50 ]
	v_exp_f32_e32 v14, v14
	v_exp_f32_e32 v15, v15
	;; [unrolled: 1-line block ×3, first 2 shown]
	s_delay_alu instid0(VALU_DEP_1)
	v_exp_f32_e32 v12, v12
	v_exp_f32_e32 v13, v13
	;; [unrolled: 1-line block ×5, first 2 shown]
	.loc	1 66 24 is_stmt 1               ; attention_bwd.py:66:24 @[ attention_bwd.py:184:50 ]
	s_wait_dscnt 0x2
	v_wmma_f32_16x16x16_f16 v[128:135], v[161:164], v[16:19], 0
	scratch_load_b128 v[16:19], off, off offset:160 ; 16-byte Folded Reload
	s_wait_loadcnt_dscnt 0x1
	v_wmma_f32_16x16x16_f16 v[128:135], v[165:168], v[16:19], v[128:135]
	scratch_load_b128 v[16:19], off, off offset:96 ; 16-byte Folded Reload
	s_wait_loadcnt_dscnt 0x0
	v_wmma_f32_16x16x16_f16 v[128:135], v[169:172], v[16:19], v[128:135]
	.loc	1 69 26                         ; attention_bwd.py:69:26 @[ attention_bwd.py:184:50 ]
	scratch_load_b32 v16, off, off offset:1340 ; 4-byte Folded Reload
	s_wait_loadcnt 0x0
	v_add_nc_u32_e32 v181, v203, v16
	scratch_load_b128 v[16:19], off, off offset:48 ; 16-byte Folded Reload
	.loc	1 66 24                         ; attention_bwd.py:66:24 @[ attention_bwd.py:184:50 ]
	ds_load_b128 v[173:176], v229 offset:2144
	.loc	1 69 26                         ; attention_bwd.py:69:26 @[ attention_bwd.py:184:50 ]
	ds_load_b128 v[177:180], v181
	.loc	1 66 24                         ; attention_bwd.py:66:24 @[ attention_bwd.py:184:50 ]
	s_wait_loadcnt_dscnt 0x1
	v_wmma_f32_16x16x16_f16 v[128:135], v[173:176], v[16:19], v[128:135]
	s_delay_alu instid0(VALU_DEP_1) | instskip(NEXT) | instid1(VALU_DEP_2)
	.loc	1 67 26                         ; attention_bwd.py:67:26 @[ attention_bwd.py:184:50 ]
	v_dual_sub_f32 v16, v128, v136 :: v_dual_sub_f32 v17, v129, v137
	v_dual_sub_f32 v18, v130, v138 :: v_dual_sub_f32 v19, v131, v139
	s_delay_alu instid0(VALU_DEP_3) | instskip(NEXT) | instid1(VALU_DEP_4)
	v_dual_sub_f32 v20, v132, v140 :: v_dual_sub_f32 v21, v133, v141
	v_dual_sub_f32 v22, v134, v142 :: v_dual_sub_f32 v23, v135, v143
	.loc	1 66 24                         ; attention_bwd.py:66:24 @[ attention_bwd.py:184:50 ]
	v_wmma_f32_16x16x16_f16 v[128:135], v[161:164], v[72:75], 0
	scratch_load_b128 v[72:75], off, off offset:144 ; 16-byte Folded Reload
	.loc	1 58 21                         ; attention_bwd.py:58:21 @[ attention_bwd.py:184:50 ]
	ds_load_u16 v159, v231 offset:2368
	ds_load_u16 v146, v231 offset:2144
	;; [unrolled: 1-line block ×8, first 2 shown]
	s_wait_dscnt 0x6
	ds_load_u16_d16_hi v146, v231 offset:2272
	ds_load_u16_d16_hi v152, v231 offset:2688
	s_wait_dscnt 0x7
	ds_load_u16_d16_hi v151, v231 offset:2432
	ds_load_u16_d16_hi v155, v231 offset:2464
	;; [unrolled: 1-line block ×3, first 2 shown]
	s_wait_dscnt 0x9
	ds_load_u16_d16_hi v161, v231 offset:3008
	s_wait_dscnt 0x9
	ds_load_u16_d16_hi v156, v231 offset:2720
	ds_load_u16_d16_hi v148, v231 offset:2784
	;; [unrolled: 1-line block ×3, first 2 shown]
	s_wait_dscnt 0xb
	ds_load_u16_d16_hi v150, v231 offset:2176
	s_wait_dscnt 0xb
	ds_load_u16_d16_hi v154, v231 offset:2208
	;; [unrolled: 2-line block ×3, first 2 shown]
	scratch_store_b32 off, v181, off offset:1612 ; 4-byte Folded Spill
	.loc	1 66 24                         ; attention_bwd.py:66:24 @[ attention_bwd.py:184:50 ]
	s_wait_loadcnt 0x0
	v_wmma_f32_16x16x16_f16 v[128:135], v[165:168], v[72:75], v[128:135]
	scratch_load_b128 v[72:75], off, off offset:80 ; 16-byte Folded Reload
	s_wait_loadcnt 0x0
	v_wmma_f32_16x16x16_f16 v[128:135], v[169:172], v[72:75], v[128:135]
	scratch_load_b128 v[72:75], off, off offset:64 ; 16-byte Folded Reload
	s_wait_loadcnt 0x0
	v_wmma_f32_16x16x16_f16 v[128:135], v[173:176], v[72:75], v[128:135]
	scratch_load_b64 v[72:73], off, off offset:1360 ; 8-byte Folded Reload
	.loc	1 67 26                         ; attention_bwd.py:67:26 @[ attention_bwd.py:184:50 ]
	v_dual_sub_f32 v163, v129, v137 :: v_dual_sub_f32 v166, v132, v140
	v_dual_sub_f32 v165, v131, v139 :: v_dual_sub_f32 v168, v134, v142
	v_sub_f32_e32 v162, v128, v136
	v_sub_f32_e32 v164, v130, v138
	.loc	1 47 25                         ; attention_bwd.py:47:25 @[ attention_bwd.py:184:50 ]
	s_wait_loadcnt 0x0
	v_or_b32_e32 v132, 0x74, v72
	v_or_b32_e32 v134, 0x77, v72
	;; [unrolled: 1-line block ×5, first 2 shown]
	.loc	1 57 36                         ; attention_bwd.py:57:36 @[ attention_bwd.py:184:50 ]
	v_cmp_ge_i32_e32 vcc_lo, v132, v249
	.loc	1 67 26                         ; attention_bwd.py:67:26 @[ attention_bwd.py:184:50 ]
	v_sub_f32_e32 v167, v133, v141
	.loc	1 47 25                         ; attention_bwd.py:47:25 @[ attention_bwd.py:184:50 ]
	v_or_b32_e32 v133, 0x76, v72
	.loc	1 57 36                         ; attention_bwd.py:57:36 @[ attention_bwd.py:184:50 ]
	v_cmp_ge_i32_e64 s1, v134, v248
	v_cmp_ge_i32_e64 s2, v132, v248
	s_wait_alu depctr_va_vcc(0)
	v_cndmask_b32_e32 v4, 0, v4, vcc_lo
	v_cmp_ge_i32_e32 vcc_lo, v133, v249
	.loc	1 67 26                         ; attention_bwd.py:67:26 @[ attention_bwd.py:184:50 ]
	v_sub_f32_e32 v169, v135, v143
	.loc	1 47 25                         ; attention_bwd.py:47:25 @[ attention_bwd.py:184:50 ]
	v_or_b32_e32 v135, 0x75, v72
	s_delay_alu instid0(VALU_DEP_4)
	.loc	1 61 21                         ; attention_bwd.py:61:21 @[ attention_bwd.py:184:50 ]
	v_cvt_f16_f32_e64 v128, v4
	.loc	1 57 36                         ; attention_bwd.py:57:36 @[ attention_bwd.py:184:50 ]
	v_cmp_ge_i32_e64 s0, v133, v248
	s_wait_alu depctr_va_vcc(0)
	v_cndmask_b32_e32 v6, 0, v6, vcc_lo
	v_cmp_ge_i32_e32 vcc_lo, v134, v249
	s_wait_alu depctr_va_sdst(0)
	v_cndmask_b32_e64 v12, 0, v12, s2
	v_cndmask_b32_e64 v15, 0, v15, s1
	;; [unrolled: 1-line block ×3, first 2 shown]
	.loc	1 61 21                         ; attention_bwd.py:61:21 @[ attention_bwd.py:184:50 ]
	v_cvt_f16_f32_e64 v129, v6
	.loc	1 57 36                         ; attention_bwd.py:57:36 @[ attention_bwd.py:184:50 ]
	s_wait_alu depctr_va_vcc(0)
	v_cndmask_b32_e32 v7, 0, v7, vcc_lo
	v_cmp_ge_i32_e32 vcc_lo, v135, v249
.Ltmp57:
	.loc	1 191 25                        ; attention_bwd.py:191:25
	s_wait_alu depctr_sa_sdst(0)
	s_sub_co_i32 s1, s3, s69
	s_delay_alu instid0(VALU_DEP_2) | instskip(SKIP_2) | instid1(VALU_DEP_2)
.Ltmp58:
	.loc	1 61 21                         ; attention_bwd.py:61:21 @[ attention_bwd.py:184:50 ]
	v_cvt_f16_f32_e64 v130, v7
	.loc	1 57 36                         ; attention_bwd.py:57:36 @[ attention_bwd.py:184:50 ]
	s_wait_alu depctr_va_vcc(0)
	v_cndmask_b32_e32 v5, 0, v5, vcc_lo
	.loc	1 62 26                         ; attention_bwd.py:62:26 @[ attention_bwd.py:184:50 ]
	v_pack_b32_f16 v131, v129, v130
	s_delay_alu instid0(VALU_DEP_2) | instskip(NEXT) | instid1(VALU_DEP_1)
	.loc	1 61 21                         ; attention_bwd.py:61:21 @[ attention_bwd.py:184:50 ]
	v_cvt_f16_f32_e64 v136, v5
	.loc	1 62 26                         ; attention_bwd.py:62:26 @[ attention_bwd.py:184:50 ]
	v_pack_b32_f16 v130, v128, v136
	.loc	1 47 25                         ; attention_bwd.py:47:25 @[ attention_bwd.py:184:50 ]
	v_or_b32_e32 v136, 0x72, v72
	s_delay_alu instid0(VALU_DEP_1)
	.loc	1 57 36                         ; attention_bwd.py:57:36 @[ attention_bwd.py:184:50 ]
	v_cmp_ge_i32_e32 vcc_lo, v136, v249
	v_cmp_ge_i32_e64 s0, v136, v248
	s_wait_alu depctr_va_vcc(0)
	v_cndmask_b32_e32 v2, 0, v2, vcc_lo
	v_cmp_ge_i32_e32 vcc_lo, v137, v249
	s_wait_alu depctr_va_sdst(0)
	v_cndmask_b32_e64 v10, 0, v10, s0
	v_cmp_ge_i32_e64 s0, v138, v248
	.loc	1 61 21                         ; attention_bwd.py:61:21 @[ attention_bwd.py:184:50 ]
	v_cvt_f16_f32_e64 v128, v2
	.loc	1 57 36                         ; attention_bwd.py:57:36 @[ attention_bwd.py:184:50 ]
	s_wait_alu depctr_va_vcc(0)
	v_cndmask_b32_e32 v3, 0, v3, vcc_lo
	v_cmp_ge_i32_e32 vcc_lo, v138, v249
	s_wait_alu depctr_va_sdst(0)
	v_cndmask_b32_e64 v8, 0, v8, s0
	.loc	1 41 56                         ; attention_bwd.py:41:56 @[ attention_bwd.py:184:50 ]
	s_lshr_b32 s0, s28, 5
	.loc	1 61 21                         ; attention_bwd.py:61:21 @[ attention_bwd.py:184:50 ]
	v_cvt_f16_f32_e64 v129, v3
	.loc	1 57 36                         ; attention_bwd.py:57:36 @[ attention_bwd.py:184:50 ]
	s_wait_alu depctr_va_vcc(0)
	v_cndmask_b32_e32 v0, 0, v0, vcc_lo
	v_cmp_ge_i32_e32 vcc_lo, v139, v249
	.loc	1 41 67                         ; attention_bwd.py:41:67 @[ attention_bwd.py:184:50 ]
	s_wait_alu depctr_sa_sdst(0)
	s_mul_i32 s36, s19, s0
	.loc	1 62 26                         ; attention_bwd.py:62:26 @[ attention_bwd.py:184:50 ]
	v_pack_b32_f16 v129, v128, v129
	.loc	1 61 21                         ; attention_bwd.py:61:21 @[ attention_bwd.py:184:50 ]
	v_cvt_f16_f32_e64 v128, v0
	.loc	1 57 36                         ; attention_bwd.py:57:36 @[ attention_bwd.py:184:50 ]
	s_wait_alu depctr_va_vcc(0)
	v_cndmask_b32_e32 v1, 0, v1, vcc_lo
	v_cmp_ge_i32_e32 vcc_lo, v135, v248
.Ltmp59:
	.loc	1 41 49                         ; attention_bwd.py:41:49 @[ attention_bwd.py:200:26 ]
	s_wait_alu depctr_sa_sdst(0)
	s_ashr_i32 s37, s36, 31
	.loc	1 47 25                         ; attention_bwd.py:47:25 @[ attention_bwd.py:200:26 ]
	s_cmp_gt_i32 s1, 31
.Ltmp60:
	.loc	1 61 21                         ; attention_bwd.py:61:21 @[ attention_bwd.py:184:50 ]
	v_cvt_f16_f32_e64 v140, v1
	.loc	1 57 36                         ; attention_bwd.py:57:36 @[ attention_bwd.py:184:50 ]
	s_wait_alu depctr_va_vcc(0)
	v_cndmask_b32_e32 v13, 0, v13, vcc_lo
	v_cmp_ge_i32_e32 vcc_lo, v137, v248
.Ltmp61:
	.loc	1 47 25                         ; attention_bwd.py:47:25 @[ attention_bwd.py:200:26 ]
	s_cselect_b32 s4, -1, 0
	s_cmp_lt_i32 s1, 32
.Ltmp62:
	.loc	1 62 26                         ; attention_bwd.py:62:26 @[ attention_bwd.py:184:50 ]
	v_pack_b32_f16 v128, v128, v140
	.loc	1 61 21                         ; attention_bwd.py:61:21 @[ attention_bwd.py:184:50 ]
	v_cvt_f16_f32_e64 v132, v13
	.loc	1 57 36                         ; attention_bwd.py:57:36 @[ attention_bwd.py:184:50 ]
	s_wait_alu depctr_va_vcc(0)
	v_cndmask_b32_e32 v11, 0, v11, vcc_lo
	v_cmp_ge_i32_e32 vcc_lo, v139, v248
	.loc	1 69 26                         ; attention_bwd.py:69:26 @[ attention_bwd.py:184:50 ]
	ds_load_b128 v[140:143], v181 offset:1536
	.loc	1 62 26                         ; attention_bwd.py:62:26 @[ attention_bwd.py:184:50 ]
	s_wait_dscnt 0x3
	v_wmma_f32_16x16x16_f16 v[217:224], v[150:153], v[128:131], v[217:224]
	s_wait_dscnt 0x2
	v_wmma_f32_16x16x16_f16 v[64:71], v[154:157], v[128:131], v[64:71]
	;; [unrolled: 2-line block ×3, first 2 shown]
	v_wmma_f32_16x16x16_f16 v[88:95], v[146:149], v[128:131], v[88:95]
	.loc	1 61 21                         ; attention_bwd.py:61:21 @[ attention_bwd.py:184:50 ]
	v_cvt_f16_f32_e64 v128, v12
	v_cvt_f16_f32_e64 v129, v14
	;; [unrolled: 1-line block ×3, first 2 shown]
	.loc	1 57 36                         ; attention_bwd.py:57:36 @[ attention_bwd.py:184:50 ]
	s_wait_alu depctr_va_vcc(0)
	v_cndmask_b32_e32 v9, 0, v9, vcc_lo
	s_clause 0x1                            ; 32-byte Folded Spill
	scratch_store_b128 off, v[88:91], off offset:384
	scratch_store_b128 off, v[92:95], off offset:400
	.loc	1 62 26                         ; attention_bwd.py:62:26 @[ attention_bwd.py:184:50 ]
	v_pack_b32_f16 v131, v129, v130
	v_pack_b32_f16 v130, v128, v132
	.loc	1 61 21                         ; attention_bwd.py:61:21 @[ attention_bwd.py:184:50 ]
	v_cvt_f16_f32_e64 v128, v10
	v_cvt_f16_f32_e64 v129, v11
	;; [unrolled: 1-line block ×3, first 2 shown]
	s_delay_alu instid0(VALU_DEP_2) | instskip(SKIP_1) | instid1(VALU_DEP_1)
	.loc	1 62 26                         ; attention_bwd.py:62:26 @[ attention_bwd.py:184:50 ]
	v_pack_b32_f16 v129, v128, v129
	.loc	1 61 21                         ; attention_bwd.py:61:21 @[ attention_bwd.py:184:50 ]
	v_cvt_f16_f32_e64 v128, v8
	.loc	1 62 26                         ; attention_bwd.py:62:26 @[ attention_bwd.py:184:50 ]
	v_pack_b32_f16 v128, v128, v132
	.loc	1 69 26                         ; attention_bwd.py:69:26 @[ attention_bwd.py:184:50 ]
	ds_load_b128 v[132:135], v181 offset:512
	ds_load_b128 v[136:139], v181 offset:1024
	.loc	1 62 26                         ; attention_bwd.py:62:26 @[ attention_bwd.py:184:50 ]
	v_wmma_f32_16x16x16_f16 v[96:103], v[150:153], v[128:131], v[96:103]
	v_wmma_f32_16x16x16_f16 v[104:111], v[154:157], v[128:131], v[104:111]
	;; [unrolled: 1-line block ×4, first 2 shown]
	.loc	1 68 21                         ; attention_bwd.py:68:21 @[ attention_bwd.py:184:50 ]
	v_fma_mixlo_f16 v131, v6, v22, 0
	scratch_load_b32 v22, off, off offset:1356 ; 4-byte Folded Reload
	v_fma_mixlo_f16 v128, v0, v16, 0
	v_fma_mixlo_f16 v130, v4, v20, 0
	;; [unrolled: 1-line block ×3, first 2 shown]
	.loc	1 69 26                         ; attention_bwd.py:69:26 @[ attention_bwd.py:184:50 ]
	v_fma_mixhi_f16 v131, v7, v23, 0
	s_clause 0x1                            ; 32-byte Folded Spill
	scratch_store_b128 off, v[96:99], off offset:416
	scratch_store_b128 off, v[100:103], off offset:432
	v_fma_mixhi_f16 v128, v1, v17, 0
	v_fma_mixhi_f16 v130, v5, v21, 0
	;; [unrolled: 1-line block ×3, first 2 shown]
	s_clause 0x1                            ; 32-byte Folded Spill
	scratch_store_b128 off, v[104:107], off offset:480
	scratch_store_b128 off, v[108:111], off offset:496
	v_mov_b32_e32 v103, v71
	v_dual_mov_b32 v111, v87 :: v_dual_mov_b32 v102, v70
	s_wait_dscnt 0x0
	v_wmma_f32_16x16x16_f16 v[32:39], v[136:139], v[128:131], v[32:39]
	v_wmma_f32_16x16x16_f16 v[204:211], v[177:180], v[128:131], v[204:211]
	;; [unrolled: 1-line block ×4, first 2 shown]
	.loc	1 68 21                         ; attention_bwd.py:68:21 @[ attention_bwd.py:184:50 ]
	v_fma_mixlo_f16 v131, v14, v168, 0
	v_fma_mixlo_f16 v130, v12, v166, 0
	v_fma_mixlo_f16 v129, v10, v164, 0
	v_fma_mixlo_f16 v128, v8, v162, 0
	v_dual_mov_b32 v95, v39 :: v_dual_mov_b32 v90, v34
	v_mov_b32_e32 v88, v32
	.loc	1 69 26                         ; attention_bwd.py:69:26 @[ attention_bwd.py:184:50 ]
	v_fma_mixhi_f16 v131, v15, v169, 0
	v_fma_mixhi_f16 v130, v13, v167, 0
	;; [unrolled: 1-line block ×4, first 2 shown]
	v_dual_mov_b32 v94, v38 :: v_dual_mov_b32 v93, v37
	v_mov_b32_e32 v100, v68
	v_mov_b32_e32 v92, v36
	s_delay_alu instid0(VALU_DEP_4)
	v_wmma_f32_16x16x16_f16 v[183:190], v[177:180], v[128:131], v[183:190]
	v_wmma_f32_16x16x16_f16 v[232:239], v[132:135], v[128:131], v[232:239]
	;; [unrolled: 1-line block ×4, first 2 shown]
	v_dual_mov_b32 v91, v35 :: v_dual_mov_b32 v98, v66
	v_dual_mov_b32 v89, v33 :: v_dual_mov_b32 v96, v64
	;; [unrolled: 1-line block ×7, first 2 shown]
	v_mov_b32_e32 v107, v83
	v_mov_b32_e32 v105, v81
.Ltmp63:
	.loc	1 38 23                         ; attention_bwd.py:38:23 @[ attention_bwd.py:200:26 ]
	s_wait_loadcnt 0x0
	v_or_b32_e32 v0, s69, v22
	s_delay_alu instid0(VALU_DEP_1) | instskip(NEXT) | instid1(VALU_DEP_1)
	.loc	1 41 36                         ; attention_bwd.py:41:36 @[ attention_bwd.py:200:26 ]
	v_mul_lo_u32 v0, s18, v0
	.loc	1 41 18 is_stmt 0               ; attention_bwd.py:41:18 @[ attention_bwd.py:200:26 ]
	v_ashrrev_i32_e32 v1, 31, v0
	s_delay_alu instid0(VALU_DEP_1) | instskip(NEXT) | instid1(VALU_DEP_1)
	v_lshlrev_b64_e32 v[0:1], 1, v[0:1]
	v_add_co_u32 v128, vcc_lo, s48, v0
	s_wait_alu depctr_va_vcc(0)
	s_delay_alu instid0(VALU_DEP_2)
	v_add_co_ci_u32_e64 v129, null, s49, v1, vcc_lo
	.loc	1 48 21 is_stmt 1               ; attention_bwd.py:48:21 @[ attention_bwd.py:200:26 ]
	s_cbranch_scc1 .LBB0_4
; %bb.3:
	.loc	1 41 49                         ; attention_bwd.py:41:49 @[ attention_bwd.py:200:26 ]
	s_wait_alu depctr_sa_sdst(0)
	s_lshl_b64 s[6:7], s[36:37], 1
	s_wait_alu depctr_sa_sdst(0)
	v_add_co_u32 v0, vcc_lo, v128, s6
	s_wait_alu depctr_va_vcc(0)
	v_add_co_ci_u32_e64 v1, null, s7, v129, vcc_lo
	.loc	1 48 21                         ; attention_bwd.py:48:21 @[ attention_bwd.py:200:26 ]
	global_load_u16 v135, v[0:1], off
.LBB0_4:
	s_wait_alu depctr_sa_sdst(0)
	v_cndmask_b32_e64 v0, 0, 1, s4
.Ltmp64:
	.loc	1 171 69                        ; attention_bwd.py:171:69
	s_lshl_b32 s14, s19, 2
	v_readlane_b32 s2, v255, 10
	v_readlane_b32 s22, v255, 12
	;; [unrolled: 1-line block ×3, first 2 shown]
.Ltmp65:
	.loc	1 48 21                         ; attention_bwd.py:48:21 @[ attention_bwd.py:200:26 ]
	v_cmp_ne_u32_e64 s0, 1, v0
	v_readlane_b32 s3, v255, 11
	v_readlane_b32 s23, v255, 13
	;; [unrolled: 1-line block ×3, first 2 shown]
.Ltmp66:
	.loc	1 41 67                         ; attention_bwd.py:41:67 @[ attention_bwd.py:184:50 ]
	s_wait_alu depctr_sa_sdst(0)
	s_add_co_i32 s38, s36, s14
.Ltmp67:
	.loc	1 48 21                         ; attention_bwd.py:48:21 @[ attention_bwd.py:200:26 ]
	s_and_not1_b32 vcc_lo, exec_lo, s4
	.loc	1 41 49                         ; attention_bwd.py:41:49 @[ attention_bwd.py:200:26 ]
	s_wait_alu depctr_sa_sdst(0)
	s_ashr_i32 s39, s38, 31
	.loc	1 48 21                         ; attention_bwd.py:48:21 @[ attention_bwd.py:200:26 ]
	s_cbranch_vccnz .LBB0_6
; %bb.5:
	.loc	1 41 49                         ; attention_bwd.py:41:49 @[ attention_bwd.py:200:26 ]
	s_wait_alu depctr_sa_sdst(0)
	s_lshl_b64 s[4:5], s[38:39], 1
	s_wait_alu depctr_sa_sdst(0)
	v_add_co_u32 v0, vcc_lo, v128, s4
	s_wait_alu depctr_va_vcc(0)
	v_add_co_ci_u32_e64 v1, null, s5, v129, vcc_lo
	.loc	1 48 21                         ; attention_bwd.py:48:21 @[ attention_bwd.py:200:26 ]
	global_load_u16 v134, v[0:1], off
.Ltmp68:
.LBB0_6:
	.loc	1 0 21 is_stmt 0                ; attention_bwd.py:0:21
	v_dual_mov_b32 v80, v217 :: v_dual_mov_b32 v81, v218
	v_dual_mov_b32 v136, 0 :: v_dual_mov_b32 v137, 0
	;; [unrolled: 1-line block ×5, first 2 shown]
.Ltmp69:
	.loc	1 41 67 is_stmt 1               ; attention_bwd.py:41:67 @[ attention_bwd.py:184:50 ]
	s_lshl3_add_u32 s40, s19, s36
.Ltmp70:
	.loc	1 48 21                         ; attention_bwd.py:48:21 @[ attention_bwd.py:200:26 ]
	s_and_b32 vcc_lo, exec_lo, s0
	.loc	1 41 49                         ; attention_bwd.py:41:49 @[ attention_bwd.py:200:26 ]
	s_wait_alu depctr_sa_sdst(0)
	s_ashr_i32 s41, s40, 31
	.loc	1 48 21                         ; attention_bwd.py:48:21 @[ attention_bwd.py:200:26 ]
	s_cbranch_vccnz .LBB0_8
; %bb.7:
	.loc	1 41 49                         ; attention_bwd.py:41:49 @[ attention_bwd.py:200:26 ]
	s_wait_alu depctr_sa_sdst(0)
	s_lshl_b64 s[4:5], s[40:41], 1
	s_wait_alu depctr_sa_sdst(0)
	v_add_co_u32 v0, vcc_lo, v128, s4
	s_wait_alu depctr_va_vcc(0)
	v_add_co_ci_u32_e64 v1, null, s5, v129, vcc_lo
	.loc	1 48 21                         ; attention_bwd.py:48:21 @[ attention_bwd.py:200:26 ]
	global_load_u16 v137, v[0:1], off
.Ltmp71:
.LBB0_8:
	.loc	1 41 67                         ; attention_bwd.py:41:67 @[ attention_bwd.py:184:50 ]
	s_mul_i32 s4, s19, 12
.Ltmp72:
	.loc	1 48 21                         ; attention_bwd.py:48:21 @[ attention_bwd.py:200:26 ]
	s_and_b32 vcc_lo, exec_lo, s0
.Ltmp73:
	.loc	1 41 67                         ; attention_bwd.py:41:67 @[ attention_bwd.py:184:50 ]
	s_wait_alu depctr_sa_sdst(0)
	s_add_co_i32 s42, s36, s4
.Ltmp74:
	.loc	1 41 49 is_stmt 0               ; attention_bwd.py:41:49 @[ attention_bwd.py:200:26 ]
	s_wait_alu depctr_sa_sdst(0)
	s_ashr_i32 s43, s42, 31
	.loc	1 48 21 is_stmt 1               ; attention_bwd.py:48:21 @[ attention_bwd.py:200:26 ]
	s_cbranch_vccnz .LBB0_10
; %bb.9:
	.loc	1 41 49                         ; attention_bwd.py:41:49 @[ attention_bwd.py:200:26 ]
	s_wait_alu depctr_sa_sdst(0)
	s_lshl_b64 s[4:5], s[42:43], 1
	s_wait_alu depctr_sa_sdst(0)
	v_add_co_u32 v0, vcc_lo, v128, s4
	s_wait_alu depctr_va_vcc(0)
	v_add_co_ci_u32_e64 v1, null, s5, v129, vcc_lo
	.loc	1 48 21                         ; attention_bwd.py:48:21 @[ attention_bwd.py:200:26 ]
	global_load_u16 v136, v[0:1], off
.Ltmp75:
.LBB0_10:
	.loc	1 171 69                        ; attention_bwd.py:171:69
	s_lshl_b32 s29, s19, 4
	v_dual_mov_b32 v138, 0 :: v_dual_mov_b32 v139, 0
.Ltmp76:
	.loc	1 41 67                         ; attention_bwd.py:41:67 @[ attention_bwd.py:184:50 ]
	s_wait_alu depctr_sa_sdst(0)
	s_add_co_i32 s44, s36, s29
.Ltmp77:
	.loc	1 48 21                         ; attention_bwd.py:48:21 @[ attention_bwd.py:200:26 ]
	s_and_b32 vcc_lo, exec_lo, s0
	.loc	1 41 49                         ; attention_bwd.py:41:49 @[ attention_bwd.py:200:26 ]
	s_wait_alu depctr_sa_sdst(0)
	s_ashr_i32 s45, s44, 31
	.loc	1 48 21                         ; attention_bwd.py:48:21 @[ attention_bwd.py:200:26 ]
	s_cbranch_vccnz .LBB0_12
; %bb.11:
	.loc	1 41 49                         ; attention_bwd.py:41:49 @[ attention_bwd.py:200:26 ]
	s_wait_alu depctr_sa_sdst(0)
	s_lshl_b64 s[4:5], s[44:45], 1
	s_wait_alu depctr_sa_sdst(0)
	v_add_co_u32 v0, vcc_lo, v128, s4
	s_wait_alu depctr_va_vcc(0)
	v_add_co_ci_u32_e64 v1, null, s5, v129, vcc_lo
	.loc	1 48 21                         ; attention_bwd.py:48:21 @[ attention_bwd.py:200:26 ]
	global_load_u16 v139, v[0:1], off
.Ltmp78:
.LBB0_12:
	.loc	1 171 69                        ; attention_bwd.py:171:69
	s_mul_i32 s15, s19, 20
.Ltmp79:
	.loc	1 48 21                         ; attention_bwd.py:48:21 @[ attention_bwd.py:200:26 ]
	s_and_b32 vcc_lo, exec_lo, s0
.Ltmp80:
	.loc	1 41 67                         ; attention_bwd.py:41:67 @[ attention_bwd.py:184:50 ]
	s_wait_alu depctr_sa_sdst(0)
	s_add_co_i32 s46, s36, s15
.Ltmp81:
	.loc	1 41 49 is_stmt 0               ; attention_bwd.py:41:49 @[ attention_bwd.py:200:26 ]
	s_wait_alu depctr_sa_sdst(0)
	s_ashr_i32 s47, s46, 31
	.loc	1 48 21 is_stmt 1               ; attention_bwd.py:48:21 @[ attention_bwd.py:200:26 ]
	s_cbranch_vccnz .LBB0_14
; %bb.13:
	.loc	1 41 49                         ; attention_bwd.py:41:49 @[ attention_bwd.py:200:26 ]
	s_wait_alu depctr_sa_sdst(0)
	s_lshl_b64 s[4:5], s[46:47], 1
	s_wait_alu depctr_sa_sdst(0)
	v_add_co_u32 v0, vcc_lo, v128, s4
	s_wait_alu depctr_va_vcc(0)
	v_add_co_ci_u32_e64 v1, null, s5, v129, vcc_lo
	.loc	1 48 21                         ; attention_bwd.py:48:21 @[ attention_bwd.py:200:26 ]
	global_load_u16 v138, v[0:1], off
.Ltmp82:
.LBB0_14:
	.loc	1 41 67                         ; attention_bwd.py:41:67 @[ attention_bwd.py:184:50 ]
	s_mul_i32 s4, s19, 24
	v_dual_mov_b32 v140, 0 :: v_dual_mov_b32 v141, 0
	s_wait_alu depctr_sa_sdst(0)
	s_add_co_i32 s4, s36, s4
.Ltmp83:
	.loc	1 48 21                         ; attention_bwd.py:48:21 @[ attention_bwd.py:200:26 ]
	s_and_b32 vcc_lo, exec_lo, s0
	.loc	1 41 49                         ; attention_bwd.py:41:49 @[ attention_bwd.py:200:26 ]
	s_wait_alu depctr_sa_sdst(0)
	s_ashr_i32 s5, s4, 31
	.loc	1 48 21                         ; attention_bwd.py:48:21 @[ attention_bwd.py:200:26 ]
	s_cbranch_vccnz .LBB0_16
; %bb.15:
	.loc	1 41 49                         ; attention_bwd.py:41:49 @[ attention_bwd.py:200:26 ]
	s_wait_alu depctr_sa_sdst(0)
	s_lshl_b64 s[6:7], s[4:5], 1
	s_wait_alu depctr_sa_sdst(0)
	v_add_co_u32 v0, vcc_lo, v128, s6
	s_wait_alu depctr_va_vcc(0)
	v_add_co_ci_u32_e64 v1, null, s7, v129, vcc_lo
	v_readlane_b32 s6, v250, 0
	v_readlane_b32 s7, v250, 1
	.loc	1 48 21                         ; attention_bwd.py:48:21 @[ attention_bwd.py:200:26 ]
	global_load_u16 v141, v[0:1], off
.LBB0_16:
	.loc	1 0 21 is_stmt 0                ; attention_bwd.py:0:21
	v_writelane_b32 v252, s4, 12
	s_mov_b64 s[26:27], s[48:49]
	.loc	1 48 21                         ; attention_bwd.py:48:21 @[ attention_bwd.py:200:26 ]
	s_and_b32 vcc_lo, exec_lo, s0
	s_wait_alu depctr_sa_sdst(0)
	v_writelane_b32 v252, s5, 13
.Ltmp84:
	.loc	1 41 67 is_stmt 1               ; attention_bwd.py:41:67 @[ attention_bwd.py:184:50 ]
	s_mul_i32 s4, s19, 28
	s_wait_alu depctr_sa_sdst(0)
	s_add_co_i32 s4, s36, s4
.Ltmp85:
	.loc	1 41 49 is_stmt 0               ; attention_bwd.py:41:49 @[ attention_bwd.py:200:26 ]
	s_wait_alu depctr_sa_sdst(0)
	s_ashr_i32 s5, s4, 31
	.loc	1 48 21 is_stmt 1               ; attention_bwd.py:48:21 @[ attention_bwd.py:200:26 ]
	s_cbranch_vccnz .LBB0_18
; %bb.17:
	.loc	1 41 49                         ; attention_bwd.py:41:49 @[ attention_bwd.py:200:26 ]
	s_wait_alu depctr_sa_sdst(0)
	s_lshl_b64 s[8:9], s[4:5], 1
	s_wait_alu depctr_sa_sdst(0)
	v_add_co_u32 v0, vcc_lo, v128, s8
	s_wait_alu depctr_va_vcc(0)
	v_add_co_ci_u32_e64 v1, null, s9, v129, vcc_lo
	.loc	1 48 21                         ; attention_bwd.py:48:21 @[ attention_bwd.py:200:26 ]
	global_load_u16 v140, v[0:1], off
.Ltmp86:
.LBB0_18:
	.loc	1 0 21 is_stmt 0                ; attention_bwd.py:0:21
	v_writelane_b32 v252, s4, 14
	.loc	1 171 69 is_stmt 1              ; attention_bwd.py:171:69
	s_lshl_b32 s51, s19, 5
	v_dual_mov_b32 v143, 0 :: v_dual_mov_b32 v142, 0
.Ltmp87:
	.loc	1 41 67                         ; attention_bwd.py:41:67 @[ attention_bwd.py:184:50 ]
	s_wait_alu depctr_sa_sdst(0)
	s_add_co_i32 s8, s36, s51
	v_writelane_b32 v252, s5, 15
.Ltmp88:
	.loc	1 48 21                         ; attention_bwd.py:48:21 @[ attention_bwd.py:200:26 ]
	s_and_b32 vcc_lo, exec_lo, s0
	.loc	1 41 49                         ; attention_bwd.py:41:49 @[ attention_bwd.py:200:26 ]
	s_wait_alu depctr_sa_sdst(0)
	s_ashr_i32 s9, s8, 31
	.loc	1 48 21                         ; attention_bwd.py:48:21 @[ attention_bwd.py:200:26 ]
	s_cbranch_vccnz .LBB0_20
; %bb.19:
	.loc	1 41 49                         ; attention_bwd.py:41:49 @[ attention_bwd.py:200:26 ]
	s_wait_alu depctr_sa_sdst(0)
	s_lshl_b64 s[10:11], s[8:9], 1
	s_wait_alu depctr_sa_sdst(0)
	v_add_co_u32 v0, vcc_lo, v128, s10
	s_wait_alu depctr_va_vcc(0)
	v_add_co_ci_u32_e64 v1, null, s11, v129, vcc_lo
	.loc	1 48 21                         ; attention_bwd.py:48:21 @[ attention_bwd.py:200:26 ]
	global_load_u16 v142, v[0:1], off
.Ltmp89:
.LBB0_20:
	.loc	1 171 69                        ; attention_bwd.py:171:69
	s_mul_i32 s50, s19, 36
.Ltmp90:
	.loc	1 48 21                         ; attention_bwd.py:48:21 @[ attention_bwd.py:200:26 ]
	s_and_b32 vcc_lo, exec_lo, s0
.Ltmp91:
	.loc	1 41 67                         ; attention_bwd.py:41:67 @[ attention_bwd.py:184:50 ]
	s_wait_alu depctr_sa_sdst(0)
	s_add_co_i32 s10, s36, s50
	v_writelane_b32 v252, s36, 16
.Ltmp92:
	.loc	1 41 49 is_stmt 0               ; attention_bwd.py:41:49 @[ attention_bwd.py:200:26 ]
	s_wait_alu depctr_sa_sdst(0)
	s_ashr_i32 s11, s10, 31
	v_writelane_b32 v252, s37, 17
	.loc	1 48 21 is_stmt 1               ; attention_bwd.py:48:21 @[ attention_bwd.py:200:26 ]
	s_cbranch_vccnz .LBB0_22
; %bb.21:
	.loc	1 41 49                         ; attention_bwd.py:41:49 @[ attention_bwd.py:200:26 ]
	s_wait_alu depctr_sa_sdst(0)
	s_lshl_b64 s[36:37], s[10:11], 1
	s_wait_alu depctr_sa_sdst(0)
	v_add_co_u32 v0, vcc_lo, v128, s36
	s_wait_alu depctr_va_vcc(0)
	v_add_co_ci_u32_e64 v1, null, s37, v129, vcc_lo
	v_readlane_b32 s36, v252, 16
	v_readlane_b32 s37, v252, 17
	.loc	1 48 21                         ; attention_bwd.py:48:21 @[ attention_bwd.py:200:26 ]
	global_load_u16 v143, v[0:1], off
.Ltmp93:
.LBB0_22:
	.loc	1 0 21 is_stmt 0                ; attention_bwd.py:0:21
	v_writelane_b32 v252, s38, 18
.Ltmp94:
	.loc	1 41 67 is_stmt 1               ; attention_bwd.py:41:67 @[ attention_bwd.py:184:50 ]
	s_mul_i32 s4, s19, 40
	v_dual_mov_b32 v146, 0 :: v_dual_mov_b32 v147, 0
	s_wait_alu depctr_sa_sdst(0)
	s_add_co_i32 s80, s36, s4
	v_writelane_b32 v252, s39, 19
.Ltmp95:
	.loc	1 48 21                         ; attention_bwd.py:48:21 @[ attention_bwd.py:200:26 ]
	s_and_b32 vcc_lo, exec_lo, s0
	.loc	1 41 49                         ; attention_bwd.py:41:49 @[ attention_bwd.py:200:26 ]
	s_wait_alu depctr_sa_sdst(0)
	s_ashr_i32 s81, s80, 31
	.loc	1 48 21                         ; attention_bwd.py:48:21 @[ attention_bwd.py:200:26 ]
	s_cbranch_vccnz .LBB0_24
; %bb.23:
	.loc	1 41 49                         ; attention_bwd.py:41:49 @[ attention_bwd.py:200:26 ]
	s_wait_alu depctr_sa_sdst(0)
	s_lshl_b64 s[38:39], s[80:81], 1
	s_wait_alu depctr_sa_sdst(0)
	v_add_co_u32 v0, vcc_lo, v128, s38
	s_wait_alu depctr_va_vcc(0)
	v_add_co_ci_u32_e64 v1, null, s39, v129, vcc_lo
	v_readlane_b32 s38, v252, 18
	v_readlane_b32 s39, v252, 19
	.loc	1 48 21                         ; attention_bwd.py:48:21 @[ attention_bwd.py:200:26 ]
	global_load_u16 v147, v[0:1], off
.Ltmp96:
.LBB0_24:
	.loc	1 0 21 is_stmt 0                ; attention_bwd.py:0:21
	v_writelane_b32 v252, s40, 20
.Ltmp97:
	.loc	1 41 67 is_stmt 1               ; attention_bwd.py:41:67 @[ attention_bwd.py:184:50 ]
	s_mul_i32 s4, s19, 44
.Ltmp98:
	.loc	1 48 21                         ; attention_bwd.py:48:21 @[ attention_bwd.py:200:26 ]
	s_and_b32 vcc_lo, exec_lo, s0
.Ltmp99:
	.loc	1 41 67                         ; attention_bwd.py:41:67 @[ attention_bwd.py:184:50 ]
	s_wait_alu depctr_sa_sdst(0)
	s_add_co_i32 s82, s36, s4
.Ltmp100:
	.loc	1 41 49 is_stmt 0               ; attention_bwd.py:41:49 @[ attention_bwd.py:200:26 ]
	s_wait_alu depctr_sa_sdst(0)
	s_ashr_i32 s83, s82, 31
	v_writelane_b32 v252, s41, 21
	.loc	1 48 21 is_stmt 1               ; attention_bwd.py:48:21 @[ attention_bwd.py:200:26 ]
	s_cbranch_vccnz .LBB0_26
; %bb.25:
	.loc	1 41 49                         ; attention_bwd.py:41:49 @[ attention_bwd.py:200:26 ]
	s_wait_alu depctr_sa_sdst(0)
	s_lshl_b64 s[40:41], s[82:83], 1
	s_wait_alu depctr_sa_sdst(0)
	v_add_co_u32 v0, vcc_lo, v128, s40
	s_wait_alu depctr_va_vcc(0)
	v_add_co_ci_u32_e64 v1, null, s41, v129, vcc_lo
	v_readlane_b32 s40, v252, 20
	v_readlane_b32 s41, v252, 21
	.loc	1 48 21                         ; attention_bwd.py:48:21 @[ attention_bwd.py:200:26 ]
	global_load_u16 v146, v[0:1], off
.Ltmp101:
.LBB0_26:
	.loc	1 0 21 is_stmt 0                ; attention_bwd.py:0:21
	v_writelane_b32 v252, s42, 22
	.loc	1 171 69 is_stmt 1              ; attention_bwd.py:171:69
	s_mul_i32 s33, s19, 48
	v_dual_mov_b32 v148, 0 :: v_dual_mov_b32 v149, 0
.Ltmp102:
	.loc	1 41 67                         ; attention_bwd.py:41:67 @[ attention_bwd.py:184:50 ]
	s_add_co_i32 s20, s36, s33
	v_writelane_b32 v252, s43, 23
.Ltmp103:
	.loc	1 48 21                         ; attention_bwd.py:48:21 @[ attention_bwd.py:200:26 ]
	s_and_b32 vcc_lo, exec_lo, s0
	.loc	1 41 49                         ; attention_bwd.py:41:49 @[ attention_bwd.py:200:26 ]
	s_wait_alu depctr_sa_sdst(0)
	s_ashr_i32 s21, s20, 31
	.loc	1 48 21                         ; attention_bwd.py:48:21 @[ attention_bwd.py:200:26 ]
	s_cbranch_vccnz .LBB0_28
; %bb.27:
	.loc	1 41 49                         ; attention_bwd.py:41:49 @[ attention_bwd.py:200:26 ]
	s_wait_alu depctr_sa_sdst(0)
	s_lshl_b64 s[42:43], s[20:21], 1
	s_wait_alu depctr_sa_sdst(0)
	v_add_co_u32 v0, vcc_lo, v128, s42
	s_wait_alu depctr_va_vcc(0)
	v_add_co_ci_u32_e64 v1, null, s43, v129, vcc_lo
	v_readlane_b32 s42, v252, 22
	v_readlane_b32 s43, v252, 23
	.loc	1 48 21                         ; attention_bwd.py:48:21 @[ attention_bwd.py:200:26 ]
	global_load_u16 v149, v[0:1], off
.Ltmp104:
.LBB0_28:
	.loc	1 0 21 is_stmt 0                ; attention_bwd.py:0:21
	v_writelane_b32 v252, s44, 24
	.loc	1 171 69 is_stmt 1              ; attention_bwd.py:171:69
	s_mul_i32 s59, s19, 52
.Ltmp105:
	.loc	1 48 21                         ; attention_bwd.py:48:21 @[ attention_bwd.py:200:26 ]
	s_and_b32 vcc_lo, exec_lo, s0
.Ltmp106:
	.loc	1 41 67                         ; attention_bwd.py:41:67 @[ attention_bwd.py:184:50 ]
	s_wait_alu depctr_sa_sdst(0)
	s_add_co_i32 s84, s36, s59
	s_clause 0x1                            ; 32-byte Folded Spill
	scratch_store_b128 off, v[120:123], off offset:448
	scratch_store_b128 off, v[124:127], off offset:464
	v_writelane_b32 v252, s45, 25
.Ltmp107:
	.loc	1 41 49 is_stmt 0               ; attention_bwd.py:41:49 @[ attention_bwd.py:200:26 ]
	s_wait_alu depctr_sa_sdst(0)
	s_ashr_i32 s85, s84, 31
	.loc	1 48 21 is_stmt 1               ; attention_bwd.py:48:21 @[ attention_bwd.py:200:26 ]
	s_cbranch_vccnz .LBB0_30
; %bb.29:
	.loc	1 41 49                         ; attention_bwd.py:41:49 @[ attention_bwd.py:200:26 ]
	s_wait_alu depctr_sa_sdst(0)
	s_lshl_b64 s[44:45], s[84:85], 1
	s_wait_alu depctr_sa_sdst(0)
	v_add_co_u32 v0, vcc_lo, v128, s44
	s_wait_alu depctr_va_vcc(0)
	v_add_co_ci_u32_e64 v1, null, s45, v129, vcc_lo
	v_readlane_b32 s44, v252, 24
	v_readlane_b32 s45, v252, 25
	.loc	1 48 21                         ; attention_bwd.py:48:21 @[ attention_bwd.py:200:26 ]
	global_load_u16 v148, v[0:1], off
.Ltmp108:
.LBB0_30:
	.loc	1 0 21 is_stmt 0                ; attention_bwd.py:0:21
	v_writelane_b32 v252, s46, 26
.Ltmp109:
	.loc	1 41 67 is_stmt 1               ; attention_bwd.py:41:67 @[ attention_bwd.py:184:50 ]
	s_mul_i32 s4, s19, 56
	v_dual_mov_b32 v150, 0 :: v_dual_mov_b32 v151, 0
	s_wait_alu depctr_sa_sdst(0)
	s_add_co_i32 s86, s36, s4
	v_writelane_b32 v252, s47, 27
.Ltmp110:
	.loc	1 48 21                         ; attention_bwd.py:48:21 @[ attention_bwd.py:200:26 ]
	s_and_b32 vcc_lo, exec_lo, s0
	.loc	1 41 49                         ; attention_bwd.py:41:49 @[ attention_bwd.py:200:26 ]
	s_wait_alu depctr_sa_sdst(0)
	s_ashr_i32 s87, s86, 31
	.loc	1 48 21                         ; attention_bwd.py:48:21 @[ attention_bwd.py:200:26 ]
	s_cbranch_vccnz .LBB0_32
; %bb.31:
	.loc	1 41 49                         ; attention_bwd.py:41:49 @[ attention_bwd.py:200:26 ]
	s_wait_alu depctr_sa_sdst(0)
	s_lshl_b64 s[46:47], s[86:87], 1
	s_wait_alu depctr_sa_sdst(0)
	v_add_co_u32 v0, vcc_lo, v128, s46
	s_wait_alu depctr_va_vcc(0)
	v_add_co_ci_u32_e64 v1, null, s47, v129, vcc_lo
	v_readlane_b32 s46, v252, 26
	v_readlane_b32 s47, v252, 27
	.loc	1 48 21                         ; attention_bwd.py:48:21 @[ attention_bwd.py:200:26 ]
	global_load_u16 v151, v[0:1], off
.Ltmp111:
.LBB0_32:
	.loc	1 41 67                         ; attention_bwd.py:41:67 @[ attention_bwd.py:184:50 ]
	s_mul_i32 s4, s19, 60
.Ltmp112:
	.loc	1 48 21                         ; attention_bwd.py:48:21 @[ attention_bwd.py:200:26 ]
	s_and_b32 vcc_lo, exec_lo, s0
.Ltmp113:
	.loc	1 41 67                         ; attention_bwd.py:41:67 @[ attention_bwd.py:184:50 ]
	s_wait_alu depctr_sa_sdst(0)
	s_add_co_i32 s4, s36, s4
.Ltmp114:
	.loc	1 41 49 is_stmt 0               ; attention_bwd.py:41:49 @[ attention_bwd.py:200:26 ]
	s_wait_alu depctr_sa_sdst(0)
	s_ashr_i32 s5, s4, 31
	v_writelane_b32 v250, s4, 2
	s_wait_alu depctr_sa_sdst(0)
	v_writelane_b32 v250, s5, 3
	.loc	1 48 21 is_stmt 1               ; attention_bwd.py:48:21 @[ attention_bwd.py:200:26 ]
	s_cbranch_vccz .LBB0_96
; %bb.33:
	.loc	1 0 21 is_stmt 0                ; attention_bwd.py:0:21
	v_dual_mov_b32 v152, 0 :: v_dual_mov_b32 v153, 0
	.loc	1 58 21 is_stmt 1               ; attention_bwd.py:58:21 @[ attention_bwd.py:200:26 ]
	s_and_b32 vcc_lo, exec_lo, s0
	s_wait_alu depctr_sa_sdst(0)
	s_cbranch_vccz .LBB0_97
.LBB0_34:
	s_and_b32 vcc_lo, exec_lo, s0
	s_wait_alu depctr_sa_sdst(0)
	s_cbranch_vccz .LBB0_98
.LBB0_35:
	.loc	1 0 21 is_stmt 0                ; attention_bwd.py:0:21
	v_dual_mov_b32 v154, 0 :: v_dual_mov_b32 v155, 0
	.loc	1 58 21                         ; attention_bwd.py:58:21 @[ attention_bwd.py:200:26 ]
	s_and_b32 vcc_lo, exec_lo, s0
	s_wait_alu depctr_sa_sdst(0)
	s_cbranch_vccz .LBB0_99
.LBB0_36:
	s_and_b32 vcc_lo, exec_lo, s0
	s_wait_alu depctr_sa_sdst(0)
	s_cbranch_vccz .LBB0_100
.LBB0_37:
	.loc	1 0 21                          ; attention_bwd.py:0:21
	v_dual_mov_b32 v156, 0 :: v_dual_mov_b32 v157, 0
	.loc	1 58 21                         ; attention_bwd.py:58:21 @[ attention_bwd.py:200:26 ]
	s_and_b32 vcc_lo, exec_lo, s0
	s_wait_alu depctr_sa_sdst(0)
	s_cbranch_vccz .LBB0_101
.LBB0_38:
	s_and_b32 vcc_lo, exec_lo, s0
	s_wait_alu depctr_sa_sdst(0)
	s_cbranch_vccz .LBB0_102
.LBB0_39:
	.loc	1 0 21                          ; attention_bwd.py:0:21
	v_dual_mov_b32 v158, 0 :: v_dual_mov_b32 v159, 0
	.loc	1 58 21                         ; attention_bwd.py:58:21 @[ attention_bwd.py:200:26 ]
	s_and_b32 vcc_lo, exec_lo, s0
	s_wait_alu depctr_sa_sdst(0)
	s_cbranch_vccz .LBB0_103
.LBB0_40:
	s_and_b32 vcc_lo, exec_lo, s0
	s_wait_alu depctr_sa_sdst(0)
	s_cbranch_vccz .LBB0_104
.LBB0_41:
	.loc	1 0 21                          ; attention_bwd.py:0:21
	v_dual_mov_b32 v23, 0 :: v_dual_mov_b32 v36, 0
	.loc	1 58 21                         ; attention_bwd.py:58:21 @[ attention_bwd.py:200:26 ]
	s_and_b32 vcc_lo, exec_lo, s0
	s_wait_alu depctr_sa_sdst(0)
	s_cbranch_vccz .LBB0_105
.LBB0_42:
	s_and_b32 vcc_lo, exec_lo, s0
	s_wait_alu depctr_sa_sdst(0)
	s_cbranch_vccz .LBB0_106
.LBB0_43:
	.loc	1 0 21                          ; attention_bwd.py:0:21
	v_dual_mov_b32 v37, 0 :: v_dual_mov_b32 v38, 0
	.loc	1 58 21                         ; attention_bwd.py:58:21 @[ attention_bwd.py:200:26 ]
	s_and_b32 vcc_lo, exec_lo, s0
	s_wait_alu depctr_sa_sdst(0)
	s_cbranch_vccz .LBB0_107
.LBB0_44:
	s_and_b32 vcc_lo, exec_lo, s0
	s_wait_alu depctr_sa_sdst(0)
	s_cbranch_vccz .LBB0_108
.LBB0_45:
	.loc	1 0 21                          ; attention_bwd.py:0:21
	v_dual_mov_b32 v164, 0 :: v_dual_mov_b32 v165, 0
	.loc	1 58 21                         ; attention_bwd.py:58:21 @[ attention_bwd.py:200:26 ]
	s_and_b32 vcc_lo, exec_lo, s0
	s_wait_alu depctr_sa_sdst(0)
	s_cbranch_vccz .LBB0_109
.LBB0_46:
	s_and_b32 vcc_lo, exec_lo, s0
	s_wait_alu depctr_sa_sdst(0)
	s_cbranch_vccz .LBB0_110
.LBB0_47:
	.loc	1 0 21                          ; attention_bwd.py:0:21
	v_dual_mov_b32 v166, 0 :: v_dual_mov_b32 v167, 0
	.loc	1 58 21                         ; attention_bwd.py:58:21 @[ attention_bwd.py:200:26 ]
	s_and_b32 vcc_lo, exec_lo, s0
	s_wait_alu depctr_sa_sdst(0)
	s_cbranch_vccz .LBB0_111
.LBB0_48:
	s_and_b32 vcc_lo, exec_lo, s0
	s_wait_alu depctr_sa_sdst(0)
	s_cbranch_vccnz .LBB0_50
.LBB0_49:
	.loc	1 38 23 is_stmt 1               ; attention_bwd.py:38:23 @[ attention_bwd.py:200:26 ]
	v_readlane_b32 s4, v251, 3
	s_or_b32 s4, s4, s69
	.loc	1 42 37                         ; attention_bwd.py:42:37 @[ attention_bwd.py:200:26 ]
	s_wait_alu depctr_sa_sdst(0)
	s_mul_i32 s48, s18, s4
	.loc	1 42 19 is_stmt 0               ; attention_bwd.py:42:19 @[ attention_bwd.py:200:26 ]
	s_wait_alu depctr_sa_sdst(0)
	s_ashr_i32 s49, s48, 31
	s_wait_alu depctr_sa_sdst(0)
	s_lshl_b64 s[48:49], s[48:49], 1
	s_wait_alu depctr_sa_sdst(0)
	s_add_nc_u64 s[48:49], s[6:7], s[48:49]
	.loc	1 42 50                         ; attention_bwd.py:42:50 @[ attention_bwd.py:200:26 ]
	s_wait_alu depctr_sa_sdst(0)
	v_add_co_u32 v0, vcc_lo, s48, v245
	s_wait_alu depctr_va_vcc(0)
	v_add_co_ci_u32_e64 v1, null, s49, v246, vcc_lo
	.loc	1 58 21 is_stmt 1               ; attention_bwd.py:58:21 @[ attention_bwd.py:200:26 ]
	global_load_u16 v166, v[0:1], off
.LBB0_50:
	.loc	1 50 26                         ; attention_bwd.py:50:26 @[ attention_bwd.py:200:26 ]
	scratch_load_b32 v0, off, off offset:1352 ; 4-byte Folded Reload
	v_dual_mov_b32 v160, 0 :: v_dual_mov_b32 v39, 0
	.loc	1 51 20                         ; attention_bwd.py:51:20 @[ attention_bwd.py:200:26 ]
	s_and_b32 vcc_lo, exec_lo, s0
	.loc	1 50 26                         ; attention_bwd.py:50:26 @[ attention_bwd.py:200:26 ]
	s_wait_loadcnt 0x0
	v_or_b32_e32 v128, s69, v0
	s_delay_alu instid0(VALU_DEP_1)
	v_ashrrev_i32_e32 v129, 31, v128
	.loc	1 51 20                         ; attention_bwd.py:51:20 @[ attention_bwd.py:200:26 ]
	s_wait_alu depctr_sa_sdst(0)
	s_cbranch_vccnz .LBB0_52
; %bb.51:
	.loc	1 0 20 is_stmt 0                ; attention_bwd.py:0:20
	s_delay_alu instid0(VALU_DEP_1) | instskip(NEXT) | instid1(VALU_DEP_1)
	v_lshlrev_b64_e32 v[0:1], 2, v[128:129]
	v_add_co_u32 v0, vcc_lo, s2, v0
	s_wait_alu depctr_va_vcc(0)
	s_delay_alu instid0(VALU_DEP_2)
	v_add_co_ci_u32_e64 v1, null, s3, v1, vcc_lo
	.loc	1 51 20                         ; attention_bwd.py:51:20 @[ attention_bwd.py:200:26 ]
	global_load_b32 v39, v[0:1], off
.LBB0_52:
	.loc	1 0 20                          ; attention_bwd.py:0:20
	scratch_load_b32 v0, off, off offset:1352 ; 4-byte Folded Reload
	.loc	1 51 24                         ; attention_bwd.py:51:24 @[ attention_bwd.py:200:26 ]
	s_ashr_i32 s4, s69, 31
	s_wait_loadcnt 0x0
	v_add_co_u32 v0, s5, v0, s69
	s_wait_alu depctr_sa_sdst(0) depctr_va_sdst(0)
	v_add_co_ci_u32_e64 v1, null, 0, s4, s5
	s_delay_alu instid0(VALU_DEP_1) | instskip(NEXT) | instid1(VALU_DEP_1)
	v_lshlrev_b64_e32 v[130:131], 2, v[0:1]
	v_add_co_u32 v132, vcc_lo, s2, v130
	s_wait_alu depctr_va_vcc(0)
	s_delay_alu instid0(VALU_DEP_2)
	v_add_co_ci_u32_e64 v133, null, s3, v131, vcc_lo
	.loc	1 51 20                         ; attention_bwd.py:51:20 @[ attention_bwd.py:200:26 ]
	s_and_b32 vcc_lo, exec_lo, s0
	s_wait_alu depctr_sa_sdst(0)
	s_cbranch_vccz .LBB0_112
; %bb.53:
	.loc	1 0 20                          ; attention_bwd.py:0:20
	v_dual_mov_b32 v162, 0 :: v_dual_mov_b32 v161, 0
	.loc	1 51 20                         ; attention_bwd.py:51:20 @[ attention_bwd.py:200:26 ]
	s_and_b32 vcc_lo, exec_lo, s0
	s_wait_alu depctr_sa_sdst(0)
	s_cbranch_vccz .LBB0_113
.LBB0_54:
	s_and_b32 vcc_lo, exec_lo, s0
	s_wait_alu depctr_sa_sdst(0)
	s_cbranch_vccz .LBB0_114
.LBB0_55:
	.loc	1 0 20                          ; attention_bwd.py:0:20
	v_dual_mov_b32 v212, 0 :: v_dual_mov_b32 v163, 0
	.loc	1 51 20                         ; attention_bwd.py:51:20 @[ attention_bwd.py:200:26 ]
	s_and_b32 vcc_lo, exec_lo, s0
	s_wait_alu depctr_sa_sdst(0)
	s_cbranch_vccz .LBB0_115
.LBB0_56:
	s_and_b32 vcc_lo, exec_lo, s0
	s_wait_alu depctr_sa_sdst(0)
	s_cbranch_vccz .LBB0_116
.LBB0_57:
	.loc	1 0 20                          ; attention_bwd.py:0:20
	v_dual_mov_b32 v214, 0 :: v_dual_mov_b32 v213, 0
	.loc	1 51 20                         ; attention_bwd.py:51:20 @[ attention_bwd.py:200:26 ]
	s_and_b32 vcc_lo, exec_lo, s0
	s_wait_alu depctr_sa_sdst(0)
	s_cbranch_vccz .LBB0_117
.LBB0_58:
	s_and_b32 vcc_lo, exec_lo, s0
	s_wait_loadcnt 0x0
	scratch_store_b128 off, v[160:163], off offset:736 ; 16-byte Folded Spill
	s_wait_alu depctr_sa_sdst(0)
	s_cbranch_vccz .LBB0_118
.LBB0_59:
	.loc	1 0 20                          ; attention_bwd.py:0:20
	v_dual_mov_b32 v161, 0 :: v_dual_mov_b32 v160, 0
	.loc	1 51 20                         ; attention_bwd.py:51:20 @[ attention_bwd.py:200:26 ]
	s_and_b32 vcc_lo, exec_lo, s0
	s_wait_alu depctr_sa_sdst(0)
	s_cbranch_vccz .LBB0_119
.LBB0_60:
	s_and_b32 vcc_lo, exec_lo, s0
	s_wait_alu depctr_sa_sdst(0)
	s_cbranch_vccz .LBB0_120
.LBB0_61:
	.loc	1 0 20                          ; attention_bwd.py:0:20
	v_dual_mov_b32 v163, 0 :: v_dual_mov_b32 v162, 0
	.loc	1 51 20                         ; attention_bwd.py:51:20 @[ attention_bwd.py:200:26 ]
	s_and_b32 vcc_lo, exec_lo, s0
	s_wait_alu depctr_sa_sdst(0)
	s_cbranch_vccz .LBB0_121
.LBB0_62:
	s_and_b32 vcc_lo, exec_lo, s0
	s_wait_loadcnt 0x0
	scratch_store_b96 off, v[212:214], off offset:752 ; 12-byte Folded Spill
	s_wait_alu depctr_sa_sdst(0)
	s_cbranch_vccz .LBB0_122
.LBB0_63:
	.loc	1 0 20                          ; attention_bwd.py:0:20
	v_dual_mov_b32 v220, 0 :: v_dual_mov_b32 v219, 0
	.loc	1 51 20                         ; attention_bwd.py:51:20 @[ attention_bwd.py:200:26 ]
	s_and_b32 vcc_lo, exec_lo, s0
	s_wait_alu depctr_sa_sdst(0)
	s_cbranch_vccz .LBB0_123
.LBB0_64:
	s_and_b32 vcc_lo, exec_lo, s0
	s_wait_alu depctr_sa_sdst(0)
	s_cbranch_vccz .LBB0_124
.LBB0_65:
	.loc	1 0 20                          ; attention_bwd.py:0:20
	v_dual_mov_b32 v222, 0 :: v_dual_mov_b32 v221, 0
	.loc	1 51 20                         ; attention_bwd.py:51:20 @[ attention_bwd.py:200:26 ]
	s_and_b32 vcc_lo, exec_lo, s0
	s_wait_alu depctr_sa_sdst(0)
	s_cbranch_vccnz .LBB0_67
.LBB0_66:
	global_load_b32 v221, v[132:133], off offset:88
.LBB0_67:
	s_and_b32 vcc_lo, exec_lo, s0
	s_clause 0xb                            ; 192-byte Folded Spill
	scratch_store_b128 off, v[232:235], off offset:672
	scratch_store_b128 off, v[236:239], off offset:688
	;; [unrolled: 1-line block ×12, first 2 shown]
	s_wait_alu depctr_sa_sdst(0)
	s_cbranch_vccnz .LBB0_69
; %bb.68:
	global_load_b32 v222, v[132:133], off offset:92
.LBB0_69:
	.loc	1 0 20                          ; attention_bwd.py:0:20
	v_mov_b32_e32 v24, 0
	v_mov_b32_e32 v0, 0
	.loc	1 64 21 is_stmt 1               ; attention_bwd.py:64:21 @[ attention_bwd.py:200:26 ]
	s_and_b32 vcc_lo, exec_lo, s0
	scratch_store_b32 off, v0, off offset:256 ; 4-byte Folded Spill
	s_wait_alu depctr_sa_sdst(0)
	s_cbranch_vccnz .LBB0_71
; %bb.70:
	.loc	1 0 21 is_stmt 0                ; attention_bwd.py:0:21
	v_lshlrev_b64_e32 v[0:1], 2, v[128:129]
	s_delay_alu instid0(VALU_DEP_1) | instskip(SKIP_1) | instid1(VALU_DEP_2)
	v_add_co_u32 v0, vcc_lo, s22, v0
	s_wait_alu depctr_va_vcc(0)
	v_add_co_ci_u32_e64 v1, null, s23, v1, vcc_lo
	.loc	1 64 21                         ; attention_bwd.py:64:21 @[ attention_bwd.py:200:26 ]
	global_load_b32 v0, v[0:1], off
	s_wait_loadcnt 0x0
	scratch_store_b32 off, v0, off offset:256 ; 4-byte Folded Spill
.LBB0_71:
	.loc	1 64 25                         ; attention_bwd.py:64:25 @[ attention_bwd.py:200:26 ]
	v_add_co_u32 v128, vcc_lo, s22, v130
	s_wait_alu depctr_va_vcc(0)
	v_add_co_ci_u32_e64 v129, null, s23, v131, vcc_lo
	.loc	1 64 21                         ; attention_bwd.py:64:21 @[ attention_bwd.py:200:26 ]
	s_and_b32 vcc_lo, exec_lo, s0
	s_wait_alu depctr_sa_sdst(0)
	s_cbranch_vccnz .LBB0_73
; %bb.72:
	global_load_b32 v24, v[128:129], off offset:4
.LBB0_73:
	.loc	1 0 21                          ; attention_bwd.py:0:21
	v_dual_mov_b32 v26, 0 :: v_dual_mov_b32 v25, 0
	.loc	1 64 21                         ; attention_bwd.py:64:21 @[ attention_bwd.py:200:26 ]
	s_and_b32 vcc_lo, exec_lo, s0
	s_wait_loadcnt 0x0
	scratch_store_b128 off, v[24:27], off offset:368 ; 16-byte Folded Spill
	s_wait_alu depctr_sa_sdst(0)
	s_cbranch_vccnz .LBB0_75
; %bb.74:
	scratch_load_b128 v[24:27], off, off offset:368 ; 16-byte Folded Reload
	s_wait_loadcnt 0x0
	global_load_b32 v25, v[128:129], off offset:8
	s_wait_loadcnt 0x0
	scratch_store_b128 off, v[24:27], off offset:368 ; 16-byte Folded Spill
.LBB0_75:
	s_and_b32 vcc_lo, exec_lo, s0
	s_wait_alu depctr_sa_sdst(0)
	s_cbranch_vccnz .LBB0_77
; %bb.76:
	scratch_load_b128 v[0:3], off, off offset:368 ; 16-byte Folded Reload
	s_wait_loadcnt 0x0
	global_load_b32 v2, v[128:129], off offset:12
	s_wait_loadcnt 0x0
	scratch_store_b128 off, v[0:3], off offset:368 ; 16-byte Folded Spill
.LBB0_77:
	.loc	1 0 21                          ; attention_bwd.py:0:21
	scratch_load_b128 v[0:3], off, off offset:368 ; 16-byte Folded Reload
	v_mov_b32_e32 v193, 0
	s_wait_loadcnt 0x0
	v_mov_b32_e32 v3, 0
	.loc	1 64 21                         ; attention_bwd.py:64:21 @[ attention_bwd.py:200:26 ]
	s_and_b32 vcc_lo, exec_lo, s0
	scratch_store_b128 off, v[0:3], off offset:368 ; 16-byte Folded Spill
	s_wait_alu depctr_sa_sdst(0)
	s_cbranch_vccnz .LBB0_79
; %bb.78:
	scratch_load_b128 v[0:3], off, off offset:368 ; 16-byte Folded Reload
	s_wait_loadcnt 0x0
	global_load_b32 v3, v[128:129], off offset:16
	s_wait_loadcnt 0x0
	scratch_store_b128 off, v[0:3], off offset:368 ; 16-byte Folded Spill
.LBB0_79:
	s_and_b32 vcc_lo, exec_lo, s0
	s_clause 0x1                            ; 32-byte Folded Spill
	scratch_store_b128 off, v[195:198], off offset:704
	scratch_store_b128 off, v[199:202], off offset:720
	s_wait_alu depctr_sa_sdst(0)
	s_cbranch_vccnz .LBB0_81
; %bb.80:
	global_load_b32 v193, v[128:129], off offset:20
.LBB0_81:
	.loc	1 0 21                          ; attention_bwd.py:0:21
	scratch_load_b32 v234, off, off offset:1352 ; 4-byte Folded Reload
	v_dual_mov_b32 v195, 0 :: v_dual_mov_b32 v194, 0
	v_mov_b32_e32 v172, v39
	.loc	1 64 21                         ; attention_bwd.py:64:21 @[ attention_bwd.py:200:26 ]
	s_and_b32 vcc_lo, exec_lo, s0
	s_wait_alu depctr_sa_sdst(0)
	s_cbranch_vccz .LBB0_125
; %bb.82:
	s_and_b32 vcc_lo, exec_lo, s0
	s_wait_alu depctr_sa_sdst(0)
	s_cbranch_vccz .LBB0_126
.LBB0_83:
	.loc	1 0 21                          ; attention_bwd.py:0:21
	v_dual_mov_b32 v4, 0 :: v_dual_mov_b32 v3, 0
	.loc	1 64 21                         ; attention_bwd.py:64:21 @[ attention_bwd.py:200:26 ]
	s_and_b32 vcc_lo, exec_lo, s0
	s_wait_alu depctr_sa_sdst(0)
	s_cbranch_vccz .LBB0_127
.LBB0_84:
	s_and_b32 vcc_lo, exec_lo, s0
	s_wait_alu depctr_sa_sdst(0)
	s_cbranch_vccz .LBB0_128
.LBB0_85:
	.loc	1 0 21                          ; attention_bwd.py:0:21
	v_dual_mov_b32 v6, 0 :: v_dual_mov_b32 v5, 0
	.loc	1 64 21                         ; attention_bwd.py:64:21 @[ attention_bwd.py:200:26 ]
	s_and_b32 vcc_lo, exec_lo, s0
	s_wait_alu depctr_sa_sdst(0)
	s_cbranch_vccz .LBB0_129
.LBB0_86:
	s_and_b32 vcc_lo, exec_lo, s0
	s_wait_alu depctr_sa_sdst(0)
	s_cbranch_vccz .LBB0_130
.LBB0_87:
	.loc	1 0 21                          ; attention_bwd.py:0:21
	v_dual_mov_b32 v8, 0 :: v_dual_mov_b32 v7, 0
	.loc	1 64 21                         ; attention_bwd.py:64:21 @[ attention_bwd.py:200:26 ]
	s_and_b32 vcc_lo, exec_lo, s0
	s_wait_alu depctr_sa_sdst(0)
	s_cbranch_vccz .LBB0_131
.LBB0_88:
	s_and_b32 vcc_lo, exec_lo, s0
	s_wait_alu depctr_sa_sdst(0)
	s_cbranch_vccz .LBB0_132
.LBB0_89:
	.loc	1 0 21                          ; attention_bwd.py:0:21
	v_dual_mov_b32 v10, 0 :: v_dual_mov_b32 v9, 0
	.loc	1 64 21                         ; attention_bwd.py:64:21 @[ attention_bwd.py:200:26 ]
	s_and_b32 vcc_lo, exec_lo, s0
	s_wait_alu depctr_sa_sdst(0)
	s_cbranch_vccz .LBB0_133
.LBB0_90:
	s_and_b32 vcc_lo, exec_lo, s0
	s_wait_alu depctr_sa_sdst(0)
	s_cbranch_vccnz .LBB0_92
.LBB0_91:
	global_load_b32 v10, v[128:129], off offset:92
.LBB0_92:
	.loc	1 72 28 is_stmt 1               ; attention_bwd.py:72:28 @[ attention_bwd.py:200:26 ]
	s_lshl_b32 s48, s18, 5
	s_mov_b64 s[6:7], s[18:19]
	.loc	1 47 25                         ; attention_bwd.py:47:25 @[ attention_bwd.py:200:26 ]
	s_cmp_lt_i32 s1, 64
	v_writelane_b32 v250, s0, 27
	v_writelane_b32 v251, s72, 3
	.loc	1 48 21                         ; attention_bwd.py:48:21 @[ attention_bwd.py:200:26 ]
	s_wait_loadcnt 0x0
	s_wait_storecnt 0x0
	s_barrier_signal -1
	.loc	1 47 25                         ; attention_bwd.py:47:25 @[ attention_bwd.py:200:26 ]
	v_writelane_b32 v250, s1, 28
	v_writelane_b32 v251, s73, 4
	;; [unrolled: 1-line block ×6, first 2 shown]
	.loc	1 48 21                         ; attention_bwd.py:48:21 @[ attention_bwd.py:200:26 ]
	s_barrier_wait -1
	.loc	1 47 25                         ; attention_bwd.py:47:25 @[ attention_bwd.py:200:26 ]
	v_writelane_b32 v250, s4, 31
	v_writelane_b32 v251, s76, 7
	.loc	1 48 21                         ; attention_bwd.py:48:21 @[ attention_bwd.py:200:26 ]
	global_inv scope:SCOPE_SE
	ds_store_b16 v244, v135
	ds_store_b16 v244, v134 offset:256
	ds_store_b16 v244, v137 offset:512
	;; [unrolled: 1-line block ×15, first 2 shown]
	.loc	1 58 21                         ; attention_bwd.py:58:21 @[ attention_bwd.py:200:26 ]
	ds_store_b16 v244, v153 offset:4096
	ds_store_b16 v244, v152 offset:4352
	;; [unrolled: 1-line block ×16, first 2 shown]
	v_writelane_b32 v250, s8, 19
	v_writelane_b32 v251, s77, 8
	;; [unrolled: 1-line block ×7, first 2 shown]
	.loc	1 47 25                         ; attention_bwd.py:47:25 @[ attention_bwd.py:200:26 ]
	v_writelane_b32 v251, s5, 0
	v_writelane_b32 v250, s80, 15
	s_wait_alu depctr_sa_sdst(0)
	v_writelane_b32 v251, s6, 1
	v_writelane_b32 v250, s81, 16
	;; [unrolled: 1-line block ×11, first 2 shown]
	s_cbranch_scc1 .LBB0_134
; %bb.93:                               ; %.lr.ph
	.loc	1 0 25 is_stmt 0                ; attention_bwd.py:0:25
	scratch_load_b32 v1, off, off offset:1340 ; 4-byte Folded Reload
	v_dual_mov_b32 v72, v204 :: v_dual_mov_b32 v75, v207
	s_clause 0x9                            ; 112-byte Folded Spill
	scratch_store_b128 off, v[96:99], off offset:260
	scratch_store_b128 off, v[100:103], off offset:276
	;; [unrolled: 1-line block ×6, first 2 shown]
	scratch_store_b32 off, v203, off offset:1636
	scratch_store_b32 off, v228, off offset:1632
	;; [unrolled: 1-line block ×4, first 2 shown]
	v_dual_mov_b32 v74, v206 :: v_dual_mov_b32 v77, v209
	v_dual_mov_b32 v76, v208 :: v_dual_mov_b32 v79, v211
	v_mov_b32_e32 v78, v210
	.loc	1 47 25                         ; attention_bwd.py:47:25 @[ attention_bwd.py:200:26 ]
	v_add3_u32 v0, s58, v22, 0x80
	v_readlane_b32 s4, v250, 2
	v_readlane_b32 s5, v250, 3
	s_ashr_i32 s49, s48, 31
	s_lshl_b64 s[62:63], s[20:21], 1
	v_mul_lo_u32 v0, s18, v0
	s_lshl_b64 s[56:57], s[86:87], 1
	s_lshl_b64 s[54:55], s[4:5], 1
	s_mov_b32 s4, s48
	s_wait_alu depctr_sa_sdst(0)
	s_lshl_b64 s[48:49], s[48:49], 1
	v_writelane_b32 v250, s4, 5
	s_lshl_b64 s[60:61], s[84:85], 1
	v_mov_b32_e32 v73, v205
	s_clause 0x18                           ; 396-byte Folded Reload
	scratch_load_b128 v[40:43], off, off offset:512
	scratch_load_b128 v[44:47], off, off offset:528
	;; [unrolled: 1-line block ×23, first 2 shown]
	scratch_load_b96 v[197:199], off, off offset:752
	scratch_load_b128 v[134:137], off, off offset:368
	v_writelane_b32 v250, s5, 6
	v_readlane_b32 s4, v252, 8
	v_readlane_b32 s5, v252, 9
	;; [unrolled: 1-line block ×4, first 2 shown]
	s_wait_alu depctr_sa_sdst(0)
	s_add_nc_u64 s[20:21], s[4:5], s[48:49]
	v_readlane_b32 s4, v252, 14
	s_wait_alu depctr_sa_sdst(0)
	s_add_nc_u64 s[54:55], s[20:21], s[54:55]
	s_add_nc_u64 s[56:57], s[20:21], s[56:57]
	;; [unrolled: 1-line block ×3, first 2 shown]
	v_readlane_b32 s5, v252, 15
	s_wait_loadcnt 0x19
	v_lshlrev_b32_e32 v2, 5, v1
	v_ashrrev_i32_e32 v1, 31, v0
	s_delay_alu instid0(VALU_DEP_2) | instskip(SKIP_3) | instid1(VALU_DEP_1)
	v_add3_u32 v149, 0, v227, v2
	scratch_load_b32 v2, off, off offset:1368 ; 4-byte Folded Reload
	v_lshlrev_b64_e32 v[0:1], 1, v[0:1]
	s_wait_alu depctr_sa_sdst(0)
	v_add_co_u32 v11, vcc_lo, s54, v0
	s_wait_alu depctr_va_vcc(0)
	s_delay_alu instid0(VALU_DEP_2)
	v_add_co_ci_u32_e64 v12, null, s55, v1, vcc_lo
	v_add_co_u32 v13, vcc_lo, s56, v0
	s_wait_alu depctr_va_vcc(0)
	v_add_co_ci_u32_e64 v14, null, s57, v1, vcc_lo
	v_add_co_u32 v248, vcc_lo, s60, v0
	s_add_nc_u64 s[54:55], s[20:21], s[62:63]
	s_wait_alu depctr_va_vcc(0)
	v_add_co_ci_u32_e64 v16, null, s61, v1, vcc_lo
	s_lshl_b64 s[56:57], s[82:83], 1
	s_wait_alu depctr_sa_sdst(0)
	v_add_co_u32 v17, vcc_lo, s54, v0
	s_wait_alu depctr_va_vcc(0)
	v_add_co_ci_u32_e64 v243, null, s55, v1, vcc_lo
	s_add_nc_u64 s[54:55], s[20:21], s[56:57]
	s_lshl_b64 s[56:57], s[80:81], 1
	s_wait_alu depctr_sa_sdst(0)
	v_add_co_u32 v19, vcc_lo, s54, v0
	s_wait_alu depctr_va_vcc(0)
	v_add_co_ci_u32_e64 v20, null, s55, v1, vcc_lo
	s_add_nc_u64 s[54:55], s[20:21], s[56:57]
	;; [unrolled: 6-line block ×4, first 2 shown]
	s_lshl_b64 s[56:57], s[4:5], 1
	v_readlane_b32 s4, v252, 12
	v_readlane_b32 s5, v252, 13
	s_wait_alu depctr_sa_sdst(0)
	v_add_co_u32 v139, vcc_lo, s54, v0
	s_wait_alu depctr_va_vcc(0)
	v_add_co_ci_u32_e64 v140, null, s55, v1, vcc_lo
	s_add_nc_u64 s[54:55], s[20:21], s[56:57]
	s_lshl_b64 s[56:57], s[4:5], 1
	s_wait_alu depctr_sa_sdst(0)
	v_add_co_u32 v141, vcc_lo, s54, v0
	s_wait_alu depctr_va_vcc(0)
	v_add_co_ci_u32_e64 v142, null, s55, v1, vcc_lo
	s_add_nc_u64 s[54:55], s[20:21], s[56:57]
	s_lshl_b64 s[56:57], s[46:47], 1
	s_wait_alu depctr_sa_sdst(0)
	v_add_co_u32 v143, vcc_lo, s54, v0
	s_wait_alu depctr_va_vcc(0)
	v_add_co_ci_u32_e64 v144, null, s55, v1, vcc_lo
	s_add_nc_u64 s[54:55], s[20:21], s[56:57]
	s_lshl_b64 s[56:57], s[44:45], 1
	s_wait_alu depctr_sa_sdst(0)
	v_add_co_u32 v145, vcc_lo, s54, v0
	s_wait_alu depctr_va_vcc(0)
	v_add_co_ci_u32_e64 v146, null, s55, v1, vcc_lo
	s_add_nc_u64 s[54:55], s[20:21], s[56:57]
	s_lshl_b64 s[56:57], s[42:43], 1
	s_wait_alu depctr_sa_sdst(0)
	v_add_co_u32 v147, vcc_lo, s54, v0
	s_wait_alu depctr_va_vcc(0)
	v_add_co_ci_u32_e64 v33, null, s55, v1, vcc_lo
	s_add_nc_u64 s[54:55], s[20:21], s[56:57]
	s_lshl_b64 s[56:57], s[40:41], 1
	s_wait_alu depctr_sa_sdst(0)
	v_add_co_u32 v150, vcc_lo, s54, v0
	s_wait_alu depctr_va_vcc(0)
	v_add_co_ci_u32_e64 v151, null, s55, v1, vcc_lo
	s_add_nc_u64 s[54:55], s[20:21], s[56:57]
	s_lshl_b64 s[56:57], s[38:39], 1
	s_wait_alu depctr_sa_sdst(0)
	v_add_co_u32 v152, vcc_lo, s54, v0
.Ltmp115:
	.loc	1 191 37 is_stmt 1              ; attention_bwd.py:191:37
	s_ashr_i32 s4, s1, 31
.Ltmp116:
	.loc	1 47 25                         ; attention_bwd.py:47:25 @[ attention_bwd.py:200:26 ]
	s_wait_alu depctr_va_vcc(0)
	v_add_co_ci_u32_e64 v153, null, s55, v1, vcc_lo
	s_lshl_b64 s[54:55], s[36:37], 1
	s_add_nc_u64 s[56:57], s[20:21], s[56:57]
.Ltmp117:
	.loc	1 191 37                        ; attention_bwd.py:191:37
	s_wait_alu depctr_sa_sdst(0)
	s_lshr_b32 s4, s4, 27
.Ltmp118:
	.loc	1 47 25                         ; attention_bwd.py:47:25 @[ attention_bwd.py:200:26 ]
	s_add_nc_u64 s[20:21], s[20:21], s[54:55]
	v_add_co_u32 v154, vcc_lo, s56, v0
.Ltmp119:
	.loc	1 191 37                        ; attention_bwd.py:191:37
	s_wait_alu depctr_sa_sdst(0)
	s_add_co_i32 s1, s1, s4
.Ltmp120:
	.loc	1 47 25                         ; attention_bwd.py:47:25 @[ attention_bwd.py:200:26 ]
	s_add_co_i32 s4, s52, 0x9e
	s_wait_alu depctr_va_vcc(0)
	v_add_co_ci_u32_e64 v155, null, s57, v1, vcc_lo
	v_add_co_u32 v156, vcc_lo, s20, v0
	s_wait_alu depctr_sa_sdst(0)
	s_mul_i32 s20, s18, s4
	s_wait_alu depctr_va_vcc(0)
	v_add_co_ci_u32_e64 v157, null, s21, v1, vcc_lo
	s_add_co_i32 s4, s52, 0x9c
	s_wait_alu depctr_sa_sdst(0)
	s_ashr_i32 s21, s20, 31
	s_mul_i32 s54, s18, s4
	s_wait_alu depctr_sa_sdst(0)
	s_lshl_b64 s[20:21], s[20:21], 1
	s_add_nc_u64 s[56:57], s[72:73], s[48:49]
	s_add_co_i32 s4, s52, 0x9a
	s_wait_alu depctr_sa_sdst(0)
	s_add_nc_u64 s[60:61], s[56:57], s[20:21]
	s_mul_i32 s20, s18, s4
	s_add_co_i32 s4, s52, 0x96
	s_wait_alu depctr_sa_sdst(0)
	s_ashr_i32 s21, s20, 31
	s_ashr_i32 s55, s54, 31
	s_wait_alu depctr_sa_sdst(0)
	s_lshl_b64 s[20:21], s[20:21], 1
	s_add_co_i32 s5, s52, 0x98
	s_wait_alu depctr_sa_sdst(0)
	s_add_nc_u64 s[64:65], s[56:57], s[20:21]
	s_mul_i32 s20, s18, s4
	s_lshl_b64 s[54:55], s[54:55], 1
	s_wait_alu depctr_sa_sdst(0)
	s_ashr_i32 s21, s20, 31
	s_mul_i32 s62, s18, s5
	s_add_nc_u64 s[54:55], s[56:57], s[54:55]
	s_wait_alu depctr_sa_sdst(0)
	s_lshl_b64 s[20:21], s[20:21], 1
	s_add_co_i32 s4, s52, 0x92
	s_ashr_i32 s63, s62, 31
	s_wait_alu depctr_sa_sdst(0)
	s_add_nc_u64 s[68:69], s[56:57], s[20:21]
	s_mul_i32 s20, s18, s4
	s_lshl_b64 s[62:63], s[62:63], 1
	s_wait_alu depctr_sa_sdst(0)
	s_ashr_i32 s21, s20, 31
	s_add_nc_u64 s[62:63], s[56:57], s[62:63]
	s_add_co_i32 s5, s52, 0x94
	s_wait_alu depctr_sa_sdst(0)
	s_lshl_b64 s[20:21], s[20:21], 1
	s_add_co_i32 s4, s52, 0x8e
	s_mul_i32 s66, s18, s5
	s_wait_alu depctr_sa_sdst(0)
	s_add_nc_u64 s[72:73], s[56:57], s[20:21]
	s_mul_i32 s20, s18, s4
	s_ashr_i32 s67, s66, 31
	s_add_co_i32 s5, s52, 0x90
	s_wait_alu depctr_sa_sdst(0)
	s_ashr_i32 s21, s20, 31
	s_lshl_b64 s[66:67], s[66:67], 1
	s_mul_i32 s70, s18, s5
	s_wait_alu depctr_sa_sdst(0)
	s_lshl_b64 s[20:21], s[20:21], 1
	s_add_co_i32 s4, s52, 0x8a
	s_add_nc_u64 s[66:67], s[56:57], s[66:67]
	s_ashr_i32 s71, s70, 31
	s_add_co_i32 s5, s52, 0x8c
	s_wait_alu depctr_sa_sdst(0)
	s_add_nc_u64 s[76:77], s[56:57], s[20:21]
	s_mul_i32 s20, s18, s4
	s_lshl_b64 s[70:71], s[70:71], 1
	s_mul_i32 s74, s18, s5
	s_wait_alu depctr_sa_sdst(0)
	s_ashr_i32 s21, s20, 31
	s_add_nc_u64 s[70:71], s[56:57], s[70:71]
	s_ashr_i32 s75, s74, 31
	s_add_co_i32 s5, s52, 0x88
	s_wait_alu depctr_sa_sdst(0)
	s_lshl_b64 s[20:21], s[20:21], 1
	s_add_co_i32 s4, s52, 0x86
	s_lshl_b64 s[74:75], s[74:75], 1
	s_mul_i32 s78, s18, s5
	s_wait_alu depctr_sa_sdst(0)
	s_add_nc_u64 s[80:81], s[56:57], s[20:21]
	s_mul_i32 s20, s18, s4
	s_add_nc_u64 s[74:75], s[56:57], s[74:75]
	s_ashr_i32 s79, s78, 31
	s_add_co_i32 s5, s52, 0x84
	s_wait_alu depctr_sa_sdst(0)
	s_ashr_i32 s21, s20, 31
	s_lshl_b64 s[78:79], s[78:79], 1
	s_mul_i32 s82, s18, s5
	s_wait_alu depctr_sa_sdst(0)
	s_lshl_b64 s[20:21], s[20:21], 1
	s_add_co_i32 s4, s52, 0x82
	s_add_nc_u64 s[78:79], s[56:57], s[78:79]
	s_ashr_i32 s83, s82, 31
	s_wait_alu depctr_sa_sdst(0)
	s_add_nc_u64 s[84:85], s[56:57], s[20:21]
	s_addk_co_i32 s52, 0x80
	s_mul_i32 s20, s18, s4
	s_lshl_b64 s[82:83], s[82:83], 1
	s_mul_i32 s52, s18, s52
	s_wait_alu depctr_sa_sdst(0)
	s_ashr_i32 s21, s20, 31
	s_add_nc_u64 s[82:83], s[56:57], s[82:83]
	s_ashr_i32 s53, s52, 31
	s_wait_alu depctr_sa_sdst(0)
	s_lshl_b64 s[20:21], s[20:21], 1
	s_lshl_b64 s[52:53], s[52:53], 1
	s_wait_alu depctr_sa_sdst(0)
	s_add_nc_u64 s[86:87], s[56:57], s[20:21]
	s_add_nc_u64 s[52:53], s[56:57], s[52:53]
.Ltmp121:
	.loc	1 191 37                        ; attention_bwd.py:191:37
	s_ashr_i32 s1, s1, 5
.Ltmp122:
	.loc	1 47 25                         ; attention_bwd.py:47:25 @[ attention_bwd.py:200:26 ]
	s_wait_alu depctr_sa_sdst(0)
	s_max_i32 s4, s1, 2
	s_add_co_i32 s1, s58, 0xa0
	s_wait_alu depctr_sa_sdst(0)
	s_add_co_i32 s20, s4, -1
	s_wait_loadcnt 0x0
	v_lshlrev_b32_e32 v2, 6, v2
	s_delay_alu instid0(VALU_DEP_1) | instskip(SKIP_2) | instid1(VALU_DEP_1)
	v_add_nc_u32_e32 v0, v226, v2
.Ltmp123:
	.loc	1 191 37                        ; attention_bwd.py:191:37
	scratch_store_b32 off, v0, off offset:1348 ; 4-byte Folded Spill
	v_dual_mov_b32 v0, v245 :: v_dual_mov_b32 v1, v246
.Ltmp124:
	.loc	1 47 25                         ; attention_bwd.py:47:25 @[ attention_bwd.py:200:26 ]
	v_add_co_u32 v133, vcc_lo, s60, v0
	s_wait_alu depctr_va_vcc(0)
	s_delay_alu instid0(VALU_DEP_2)
	v_add_co_ci_u32_e64 v158, null, s61, v1, vcc_lo
	v_add_co_u32 v196, vcc_lo, s54, v0
	s_wait_alu depctr_va_vcc(0)
	v_add_co_ci_u32_e64 v225, null, s55, v1, vcc_lo
	v_add_co_u32 v226, vcc_lo, s64, v0
	s_wait_alu depctr_va_vcc(0)
	;; [unrolled: 3-line block ×3, first 2 shown]
	v_add_co_ci_u32_e64 v237, null, s63, v1, vcc_lo
	v_add_co_u32 v249, vcc_lo, s68, v0
	scratch_store_b32 off, v2, off offset:364 ; 4-byte Folded Spill
	s_wait_alu depctr_va_vcc(0)
	v_add_co_ci_u32_e64 v2, null, s69, v1, vcc_lo
	s_clause 0x2                            ; 16-byte Folded Spill
	scratch_store_b32 off, v229, off offset:1344
	scratch_store_b64 off, v[0:1], off offset:1616
	scratch_store_b32 off, v2, off offset:356
	v_add_co_u32 v2, vcc_lo, s66, v0
	s_wait_alu depctr_va_vcc(0)
	v_add_co_ci_u32_e64 v189, null, s67, v1, vcc_lo
	v_add_co_u32 v159, vcc_lo, s72, v0
	s_wait_alu depctr_va_vcc(0)
	v_add_co_ci_u32_e64 v208, null, s73, v1, vcc_lo
	;; [unrolled: 3-line block ×3, first 2 shown]
	v_add_co_u32 v30, vcc_lo, s76, v0
	scratch_store_b32 off, v2, off offset:360 ; 4-byte Folded Spill
	s_wait_alu depctr_va_vcc(0)
	v_add_co_ci_u32_e64 v28, null, s77, v1, vcc_lo
	v_add_co_u32 v2, vcc_lo, s74, v0
	s_wait_alu depctr_va_vcc(0)
	v_add_co_ci_u32_e64 v26, null, s75, v1, vcc_lo
	v_add_co_u32 v185, vcc_lo, s80, v0
	s_wait_alu depctr_va_vcc(0)
	v_add_co_ci_u32_e64 v186, null, s81, v1, vcc_lo
	v_add_co_u32 v187, vcc_lo, s78, v0
	s_wait_alu depctr_va_vcc(0)
	v_add_co_ci_u32_e64 v188, null, s79, v1, vcc_lo
	v_add_co_u32 v24, vcc_lo, s84, v0
	s_wait_alu depctr_va_vcc(0)
	v_add_co_ci_u32_e64 v192, null, s85, v1, vcc_lo
	v_add_co_u32 v245, vcc_lo, s82, v0
	s_wait_alu depctr_va_vcc(0)
	v_add_co_ci_u32_e64 v148, null, s83, v1, vcc_lo
	v_add_co_u32 v190, vcc_lo, s86, v0
	s_wait_alu depctr_va_vcc(0)
	v_add_co_ci_u32_e64 v228, null, s87, v1, vcc_lo
	v_add_co_u32 v191, vcc_lo, s52, v0
	s_wait_alu depctr_va_vcc(0)
	v_add_co_ci_u32_e64 v25, null, s53, v1, vcc_lo
.LBB0_94:                               ; =>This Inner Loop Header: Depth=1
	.loc	1 72 19                         ; attention_bwd.py:72:19 @[ attention_bwd.py:200:26 ]
	v_add_co_u32 v0, vcc_lo, v156, s16
	s_wait_alu depctr_va_vcc(0)
	v_add_co_ci_u32_e64 v1, null, s17, v157, vcc_lo
	s_clause 0x1f                           ; 128-byte Folded Spill
	scratch_store_b32 off, v2, off offset:1132
	scratch_store_b32 off, v26, off offset:1124
	;; [unrolled: 1-line block ×32, first 2 shown]
	s_clause 0x8                            ; 36-byte Folded Spill
	scratch_store_b32 off, v146, off offset:608
	scratch_store_b32 off, v145, off offset:576
	;; [unrolled: 1-line block ×9, first 2 shown]
	v_dual_mov_b32 v133, v135 :: v_dual_mov_b32 v132, v136
	.loc	1 48 21                         ; attention_bwd.py:48:21 @[ attention_bwd.py:200:26 ]
	global_load_u16 v0, v[0:1], off
	scratch_load_b32 v135, off, off offset:256 th:TH_LOAD_LU ; 4-byte Folded Reload
	v_dual_mov_b32 v230, v180 :: v_dual_mov_b32 v229, v189
	v_dual_mov_b32 v131, v137 :: v_dual_mov_b32 v130, v193
	;; [unrolled: 1-line block ×3, first 2 shown]
	v_mov_b32_e32 v234, v188
	v_mov_b32_e32 v246, v13
	.loc	1 51 24                         ; attention_bwd.py:51:24 @[ attention_bwd.py:200:26 ]
	s_ashr_i32 s4, s1, 31
	.loc	1 47 25                         ; attention_bwd.py:47:25 @[ attention_bwd.py:200:26 ]
	s_wait_alu depctr_sa_sdst(0)
	s_add_co_i32 s20, s20, -1
	v_mov_b32_e32 v249, v199
	v_mov_b32_e32 v37, v172
	;; [unrolled: 1-line block ×5, first 2 shown]
	.loc	1 72 19                         ; attention_bwd.py:72:19 @[ attention_bwd.py:200:26 ]
	s_wait_loadcnt 0x1
	scratch_store_b32 off, v0, off offset:952 ; 4-byte Folded Spill
	v_add_co_u32 v0, vcc_lo, v154, s16
	s_wait_alu depctr_va_vcc(0)
	v_add_co_ci_u32_e64 v1, null, s17, v155, vcc_lo
	.loc	1 48 21                         ; attention_bwd.py:48:21 @[ attention_bwd.py:200:26 ]
	global_load_u16 v0, v[0:1], off
	.loc	1 72 19                         ; attention_bwd.py:72:19 @[ attention_bwd.py:200:26 ]
	s_wait_loadcnt 0x0
	scratch_store_b32 off, v0, off offset:968 ; 4-byte Folded Spill
	v_add_co_u32 v0, vcc_lo, v152, s16
	s_wait_alu depctr_va_vcc(0)
	v_add_co_ci_u32_e64 v1, null, s17, v153, vcc_lo
	.loc	1 48 21                         ; attention_bwd.py:48:21 @[ attention_bwd.py:200:26 ]
	global_load_u16 v0, v[0:1], off
	;; [unrolled: 8-line block ×15, first 2 shown]
	s_wait_loadcnt 0x0
	scratch_store_b32 off, v0, off offset:1100 ; 4-byte Folded Spill
	.loc	1 69 26                         ; attention_bwd.py:69:26 @[ attention_bwd.py:200:26 ]
	s_wait_storecnt_dscnt 0x0
	s_barrier_signal -1
	s_barrier_wait -1
	global_inv scope:SCOPE_SE
	s_clause 0x8                            ; 132-byte Folded Reload
	scratch_load_b32 v190, off, off offset:1344
	scratch_load_b128 v[177:180], off, off offset:128
	scratch_load_b128 v[64:67], off, off offset:112
	;; [unrolled: 1-line block ×8, first 2 shown]
	.loc	1 66 24                         ; attention_bwd.py:66:24 @[ attention_bwd.py:200:26 ]
	s_wait_loadcnt 0x8
	ds_load_b128 v[144:147], v190 offset:4096
	ds_load_b128 v[150:153], v190 offset:4128
	;; [unrolled: 1-line block ×4, first 2 shown]
	v_mov_b32_e32 v2, v4
	v_mov_b32_e32 v4, v6
	v_mov_b32_e32 v6, v8
	v_mov_b32_e32 v8, v10
	s_wait_loadcnt_dscnt 0x703
	v_wmma_f32_16x16x16_f16 v[136:143], v[144:147], v[177:180], 0
	s_wait_loadcnt_dscnt 0x502
	s_delay_alu instid0(VALU_DEP_1) | instskip(SKIP_1) | instid1(VALU_DEP_1)
	v_wmma_f32_16x16x16_f16 v[136:143], v[150:153], v[181:184], v[136:143]
	s_wait_loadcnt_dscnt 0x301
	v_wmma_f32_16x16x16_f16 v[136:143], v[154:157], v[173:176], v[136:143]
	s_wait_loadcnt_dscnt 0x100
	s_delay_alu instid0(VALU_DEP_1) | instskip(NEXT) | instid1(VALU_DEP_1)
	v_wmma_f32_16x16x16_f16 v[136:143], v[193:196], v[223:226], v[136:143]
	.loc	1 67 26                         ; attention_bwd.py:67:26 @[ attention_bwd.py:200:26 ]
	v_sub_f32_e32 v0, v136, v135
	scratch_store_b32 off, v0, off offset:1312 ; 4-byte Folded Spill
	v_sub_f32_e32 v0, v137, v134
	scratch_store_b32 off, v0, off offset:1308 ; 4-byte Folded Spill
	;; [unrolled: 2-line block ×7, first 2 shown]
	v_sub_f32_e32 v0, v143, v128
	.loc	1 66 24                         ; attention_bwd.py:66:24 @[ attention_bwd.py:200:26 ]
	v_wmma_f32_16x16x16_f16 v[136:143], v[144:147], v[64:67], 0
	scratch_store_b32 off, v0, off offset:1332 ; 4-byte Folded Spill
	v_wmma_f32_16x16x16_f16 v[136:143], v[150:153], v[68:71], v[136:143]
	ds_load_b128 v[144:147], v190 offset:6208
	ds_load_b128 v[150:153], v190 offset:6240
	v_wmma_f32_16x16x16_f16 v[136:143], v[154:157], v[33:36], v[136:143]
	scratch_load_b128 v[154:157], off, off offset:64 ; 16-byte Folded Reload
	s_wait_loadcnt 0x0
	v_wmma_f32_16x16x16_f16 v[136:143], v[193:196], v[154:157], v[136:143]
	s_delay_alu instid0(VALU_DEP_1)
	.loc	1 67 26                         ; attention_bwd.py:67:26 @[ attention_bwd.py:200:26 ]
	v_sub_f32_e32 v0, v136, v135
	scratch_store_b32 off, v0, off offset:1268 ; 4-byte Folded Spill
	v_sub_f32_e32 v0, v137, v134
	scratch_store_b32 off, v0, off offset:1260 ; 4-byte Folded Spill
	;; [unrolled: 2-line block ×7, first 2 shown]
	v_sub_f32_e32 v0, v143, v128
	.loc	1 66 24                         ; attention_bwd.py:66:24 @[ attention_bwd.py:200:26 ]
	ds_load_b128 v[136:139], v190 offset:6144
	ds_load_b128 v[140:143], v190 offset:6176
	scratch_store_b32 off, v0, off offset:1300 ; 4-byte Folded Spill
	v_dual_mov_b32 v0, v3 :: v_dual_mov_b32 v3, v5
	v_mov_b32_e32 v5, v7
	v_mov_b32_e32 v7, v9
	s_wait_dscnt 0x1
	v_wmma_f32_16x16x16_f16 v[128:135], v[136:139], v[177:180], 0
	v_mov_b32_e32 v180, v230
	v_mov_b32_e32 v230, v14
	s_wait_dscnt 0x0
	s_delay_alu instid0(VALU_DEP_3)
	v_wmma_f32_16x16x16_f16 v[128:135], v[140:143], v[181:184], v[128:135]
	scratch_load_b128 v[181:184], off, off  ; 16-byte Folded Reload
	v_wmma_f32_16x16x16_f16 v[128:135], v[144:147], v[173:176], v[128:135]
	v_mov_b32_e32 v179, v87
	v_mov_b32_e32 v177, v85
	v_dual_mov_b32 v175, v83 :: v_dual_mov_b32 v178, v86
	s_delay_alu instid0(VALU_DEP_4)
	v_wmma_f32_16x16x16_f16 v[128:135], v[150:153], v[223:226], v[128:135]
	scratch_load_b128 v[223:226], off, off offset:176 ; 16-byte Folded Reload
	v_mov_b32_e32 v176, v84
	v_dual_mov_b32 v174, v82 :: v_dual_mov_b32 v173, v81
	.loc	1 67 26                         ; attention_bwd.py:67:26 @[ attention_bwd.py:200:26 ]
	v_sub_f32_e32 v1, v128, v0
	scratch_store_b32 off, v1, off offset:1148 ; 4-byte Folded Spill
	v_sub_f32_e32 v1, v129, v2
	scratch_store_b32 off, v1, off offset:256 ; 4-byte Folded Spill
	;; [unrolled: 2-line block ×7, first 2 shown]
	v_sub_f32_e32 v1, v135, v8
	.loc	1 66 24                         ; attention_bwd.py:66:24 @[ attention_bwd.py:200:26 ]
	v_wmma_f32_16x16x16_f16 v[128:135], v[136:139], v[64:67], 0
	scratch_load_b128 v[64:67], off, off offset:240 ; 16-byte Folded Reload
	v_wmma_f32_16x16x16_f16 v[128:135], v[140:143], v[68:71], v[128:135]
	scratch_load_b128 v[68:71], off, off offset:16 ; 16-byte Folded Reload
	v_wmma_f32_16x16x16_f16 v[128:135], v[144:147], v[33:36], v[128:135]
	v_mov_b32_e32 v35, v239
	v_mov_b32_e32 v239, v24
	scratch_load_b128 v[24:27], off, off offset:224 ; 16-byte Folded Reload
	v_mov_b32_e32 v34, v197
	v_wmma_f32_16x16x16_f16 v[128:135], v[150:153], v[154:157], v[128:135]
	v_dual_mov_b32 v197, v186 :: v_dual_mov_b32 v36, v238
	scratch_load_b128 v[235:238], off, off offset:208 ; 16-byte Folded Reload
	v_mov_b32_e32 v150, v198
	.loc	1 67 26                         ; attention_bwd.py:67:26 @[ attention_bwd.py:200:26 ]
	v_dual_sub_f32 v0, v128, v0 :: v_dual_mov_b32 v33, v241
	v_mov_b32_e32 v32, v240
	v_mov_b32_e32 v198, v158
	scratch_store_b32 off, v0, off offset:1164 ; 4-byte Folded Spill
	v_sub_f32_e32 v0, v129, v2
	.loc	1 66 24                         ; attention_bwd.py:66:24 @[ attention_bwd.py:200:26 ]
	scratch_store_b32 off, v1, off offset:1220 ; 4-byte Folded Spill
	v_mov_b32_e32 v1, v185
	scratch_load_b128 v[185:188], off, off offset:192 ; 16-byte Folded Reload
	v_mov_b32_e32 v172, v80
	.loc	1 67 26                         ; attention_bwd.py:67:26 @[ attention_bwd.py:200:26 ]
	scratch_store_b32 off, v0, off offset:1140 ; 4-byte Folded Spill
	v_sub_f32_e32 v0, v130, v3
	scratch_store_b32 off, v0, off offset:1196 ; 4-byte Folded Spill
	v_sub_f32_e32 v0, v131, v4
	;; [unrolled: 2-line block ×6, first 2 shown]
	.loc	1 48 21                         ; attention_bwd.py:48:21 @[ attention_bwd.py:200:26 ]
	ds_load_u16 v128, v149
	ds_load_u16 v129, v149 offset:128
	ds_load_u16 v130, v149 offset:256
	;; [unrolled: 1-line block ×17, first 2 shown]
	.loc	1 58 21                         ; attention_bwd.py:58:21 @[ attention_bwd.py:200:26 ]
	ds_load_u16 v242, v231 offset:6976
	ds_load_u16 v241, v231 offset:6720
	;; [unrolled: 1-line block ×4, first 2 shown]
	.loc	1 48 21                         ; attention_bwd.py:48:21 @[ attention_bwd.py:200:26 ]
	ds_load_u16 v4, v149 offset:1056
	s_wait_dscnt 0x12
	ds_load_u16_d16_hi v133, v149 offset:1216
	s_wait_dscnt 0x7
	ds_load_u16_d16_hi v146, v149 offset:2400
	ds_load_u16_d16_hi v134, v149 offset:1344
	;; [unrolled: 1-line block ×3, first 2 shown]
	.loc	1 58 21                         ; attention_bwd.py:58:21 @[ attention_bwd.py:200:26 ]
	s_wait_dscnt 0x8
	ds_load_u16_d16_hi v242, v231 offset:7104
	.loc	1 48 21                         ; attention_bwd.py:48:21 @[ attention_bwd.py:200:26 ]
	ds_load_u16_d16_hi v128, v149 offset:64
	ds_load_u16 v194, v149 offset:160
	ds_load_u16 v193, v149 offset:32
	ds_load_u16_d16_hi v130, v149 offset:320
	ds_load_u16 v196, v149 offset:416
	ds_load_u16_d16_hi v129, v149 offset:192
	;; [unrolled: 2-line block ×3, first 2 shown]
	ds_load_u16 v144, v149 offset:2080
	ds_load_u16 v7, v149 offset:1440
	ds_load_u16_d16_hi v131, v149 offset:448
	ds_load_u16_d16_hi v132, v149 offset:1088
	ds_load_u16 v5, v149 offset:1184
	ds_load_u16 v6, v149 offset:1312
	ds_load_u16_d16_hi v141, v149 offset:3264
	ds_load_u16 v11, v149 offset:3488
	ds_load_u16 v10, v149 offset:3360
	;; [unrolled: 1-line block ×4, first 2 shown]
	ds_load_u16_d16_hi v136, v149 offset:2112
	ds_load_u16_d16_hi v137, v149 offset:2240
	;; [unrolled: 1-line block ×4, first 2 shown]
	ds_load_u16 v147, v149 offset:2464
	ds_load_u16_d16_hi v145, v149 offset:2272
	ds_load_u16_d16_hi v142, v149 offset:3392
	ds_load_u16_d16_hi v143, v149 offset:3520
	s_wait_dscnt 0xb
	ds_load_u16_d16_hi v11, v149 offset:3552
	.loc	1 58 21                         ; attention_bwd.py:58:21 @[ attention_bwd.py:200:26 ]
	ds_load_u16_d16_hi v241, v231 offset:6848
	ds_load_u16_d16_hi v3, v231 offset:7040
	ds_load_u16 v12, v231 offset:7008
	ds_load_u16 v16, v231 offset:6944
	s_wait_dscnt 0x1
	ds_load_u16_d16_hi v12, v231 offset:7136
	.loc	1 48 21                         ; attention_bwd.py:48:21 @[ attention_bwd.py:200:26 ]
	ds_load_u16_d16_hi v194, v149 offset:224
	ds_load_u16_d16_hi v193, v149 offset:96
	;; [unrolled: 1-line block ×13, first 2 shown]
	scratch_store_b32 off, v0, off offset:1236 ; 4-byte Folded Spill
	.loc	1 52 24                         ; attention_bwd.py:52:24 @[ attention_bwd.py:200:26 ]
	s_wait_loadcnt 0x4
	v_wmma_f32_16x16x16_f16 v[151:158], v[128:131], v[64:67], 0
	s_wait_loadcnt 0x3
	s_delay_alu instid0(VALU_DEP_1) | instskip(SKIP_1) | instid1(VALU_DEP_1)
	v_wmma_f32_16x16x16_f16 v[151:158], v[132:135], v[68:71], v[151:158]
	s_wait_loadcnt 0x2
	v_wmma_f32_16x16x16_f16 v[151:158], v[136:139], v[24:27], v[151:158]
	s_wait_loadcnt 0x0
	s_delay_alu instid0(VALU_DEP_1) | instskip(NEXT) | instid1(VALU_DEP_1)
	v_wmma_f32_16x16x16_f16 v[151:158], v[140:143], v[185:188], v[151:158]
	.loc	1 53 32                         ; attention_bwd.py:53:32 @[ attention_bwd.py:200:26 ]
	v_dual_sub_f32 v0, v151, v37 :: v_dual_sub_f32 v13, v152, v36
	s_delay_alu instid0(VALU_DEP_2) | instskip(NEXT) | instid1(VALU_DEP_3)
	v_dual_sub_f32 v14, v153, v35 :: v_dual_sub_f32 v15, v154, v32
	v_dual_sub_f32 v17, v155, v33 :: v_dual_sub_f32 v18, v156, v34
	s_delay_alu instid0(VALU_DEP_4) | instskip(SKIP_1) | instid1(VALU_DEP_4)
	v_dual_sub_f32 v19, v157, v150 :: v_dual_sub_f32 v20, v158, v249
	.loc	1 52 24                         ; attention_bwd.py:52:24 @[ attention_bwd.py:200:26 ]
	v_wmma_f32_16x16x16_f16 v[151:158], v[128:131], v[181:184], 0
	.loc	1 53 26                         ; attention_bwd.py:53:26 @[ attention_bwd.py:200:26 ]
	v_exp_f32_e32 v15, v15
	s_delay_alu instid0(VALU_DEP_1) | instskip(SKIP_2) | instid1(VALU_DEP_2)
	.loc	1 52 24                         ; attention_bwd.py:52:24 @[ attention_bwd.py:200:26 ]
	v_wmma_f32_16x16x16_f16 v[151:158], v[132:135], v[28:31], v[151:158]
	s_wait_dscnt 0x8
	v_wmma_f32_16x16x16_f16 v[128:135], v[193:196], v[64:67], 0
	v_wmma_f32_16x16x16_f16 v[151:158], v[136:139], v[235:238], v[151:158]
	s_wait_dscnt 0x4
	s_delay_alu instid0(VALU_DEP_2) | instskip(NEXT) | instid1(VALU_DEP_2)
	v_wmma_f32_16x16x16_f16 v[128:135], v[4:7], v[68:71], v[128:135]
	v_wmma_f32_16x16x16_f16 v[151:158], v[140:143], v[223:226], v[151:158]
	v_mov_b32_e32 v141, v160
	s_wait_dscnt 0x3
	s_delay_alu instid0(VALU_DEP_3)
	v_wmma_f32_16x16x16_f16 v[128:135], v[144:147], v[24:27], v[128:135]
	v_dual_mov_b32 v142, v161 :: v_dual_mov_b32 v143, v162
	.loc	1 53 32                         ; attention_bwd.py:53:32 @[ attention_bwd.py:200:26 ]
	v_sub_f32_e32 v21, v151, v37
	v_sub_f32_e32 v23, v153, v35
	v_dual_sub_f32 v137, v155, v33 :: v_dual_sub_f32 v136, v154, v32
	v_dual_sub_f32 v138, v156, v34 :: v_dual_mov_b32 v153, v221
	v_sub_f32_e32 v22, v152, v36
	s_clause 0xc                            ; 124-byte Folded Reload
	scratch_load_b128 v[64:67], off, off offset:260 th:TH_LOAD_LU
	scratch_load_b128 v[68:71], off, off offset:276 th:TH_LOAD_LU
	;; [unrolled: 1-line block ×6, first 2 shown]
	scratch_load_b32 v25, off, off offset:816 th:TH_LOAD_LU
	scratch_load_b32 v191, off, off offset:812 th:TH_LOAD_LU
	;; [unrolled: 1-line block ×7, first 2 shown]
	.loc	1 52 24                         ; attention_bwd.py:52:24 @[ attention_bwd.py:200:26 ]
	s_wait_dscnt 0x0
	v_wmma_f32_16x16x16_f16 v[128:135], v[8:11], v[185:188], v[128:135]
	.loc	1 53 32                         ; attention_bwd.py:53:32 @[ attention_bwd.py:200:26 ]
	v_dual_sub_f32 v139, v157, v150 :: v_dual_mov_b32 v150, v163
	v_dual_mov_b32 v151, v219 :: v_dual_mov_b32 v154, v222
	s_delay_alu instid0(VALU_DEP_3) | instskip(SKIP_4) | instid1(VALU_DEP_4)
	v_sub_f32_e32 v155, v128, v141
	v_mov_b32_e32 v152, v220
	v_sub_f32_e32 v140, v158, v249
	v_dual_sub_f32 v156, v129, v142 :: v_dual_sub_f32 v157, v130, v143
	v_sub_f32_e32 v158, v131, v150
	v_dual_sub_f32 v26, v132, v151 :: v_dual_sub_f32 v27, v133, v152
	v_dual_sub_f32 v161, v134, v153 :: v_dual_sub_f32 v160, v135, v154
	.loc	1 52 24                         ; attention_bwd.py:52:24 @[ attention_bwd.py:200:26 ]
	v_wmma_f32_16x16x16_f16 v[128:135], v[193:196], v[181:184], 0
	.loc	1 53 26                         ; attention_bwd.py:53:26 @[ attention_bwd.py:200:26 ]
	v_exp_f32_e32 v14, v14
	v_dual_mov_b32 v188, v234 :: v_dual_mov_b32 v187, v199
	s_delay_alu instid0(VALU_DEP_2)
	.loc	1 52 24                         ; attention_bwd.py:52:24 @[ attention_bwd.py:200:26 ]
	v_wmma_f32_16x16x16_f16 v[128:135], v[4:7], v[28:31], v[128:135]
	v_mov_b32_e32 v185, v1
	.loc	1 53 26                         ; attention_bwd.py:53:26 @[ attention_bwd.py:200:26 ]
	v_exp_f32_e32 v1, v137
	v_exp_f32_e32 v199, v140
	;; [unrolled: 1-line block ×3, first 2 shown]
	.loc	1 52 24                         ; attention_bwd.py:52:24 @[ attention_bwd.py:200:26 ]
	v_wmma_f32_16x16x16_f16 v[128:135], v[144:147], v[235:238], v[128:135]
	.loc	1 53 26                         ; attention_bwd.py:53:26 @[ attention_bwd.py:200:26 ]
	v_exp_f32_e32 v145, v0
	v_exp_f32_e32 v146, v13
	;; [unrolled: 1-line block ×3, first 2 shown]
	v_mov_b32_e32 v186, v197
	.loc	1 52 24                         ; attention_bwd.py:52:24 @[ attention_bwd.py:200:26 ]
	v_wmma_f32_16x16x16_f16 v[128:135], v[8:11], v[223:226], v[128:135]
	.loc	1 53 26                         ; attention_bwd.py:53:26 @[ attention_bwd.py:200:26 ]
	v_exp_f32_e32 v23, v23
	v_exp_f32_e32 v197, v136
	;; [unrolled: 1-line block ×3, first 2 shown]
	.loc	1 61 21                         ; attention_bwd.py:61:21 @[ attention_bwd.py:200:26 ]
	v_cvt_f16_f32_e64 v137, v234
	.loc	1 53 32                         ; attention_bwd.py:53:32 @[ attention_bwd.py:200:26 ]
	v_dual_sub_f32 v193, v128, v141 :: v_dual_sub_f32 v194, v129, v142
	v_sub_f32_e32 v195, v130, v143
	v_sub_f32_e32 v237, v132, v151
	.loc	1 53 26 is_stmt 0               ; attention_bwd.py:53:26 @[ attention_bwd.py:200:26 ]
	v_exp_f32_e32 v141, v17
	v_exp_f32_e32 v142, v19
	;; [unrolled: 1-line block ×4, first 2 shown]
	.loc	1 53 32                         ; attention_bwd.py:53:32 @[ attention_bwd.py:200:26 ]
	v_sub_f32_e32 v196, v131, v150
	v_dual_sub_f32 v238, v133, v152 :: v_dual_sub_f32 v249, v134, v153
	v_sub_f32_e32 v154, v135, v154
	.loc	1 58 21 is_stmt 1               ; attention_bwd.py:58:21 @[ attention_bwd.py:200:26 ]
	ds_load_u16 v10, v231 offset:4704
	ds_load_u16 v9, v231 offset:4448
	;; [unrolled: 1-line block ×14, first 2 shown]
	.loc	1 61 21                         ; attention_bwd.py:61:21 @[ attention_bwd.py:200:26 ]
	v_cvt_f16_f32_e64 v0, v145
	v_cvt_f16_f32_e64 v4, v141
	;; [unrolled: 1-line block ×5, first 2 shown]
	.loc	1 53 26                         ; attention_bwd.py:53:26 @[ attention_bwd.py:200:26 ]
	v_exp_f32_e32 v22, v22
	v_mov_b32_e32 v24, v239
	s_clause 0x2                            ; 12-byte Folded Reload
	scratch_load_b32 v226, off, off offset:792 th:TH_LOAD_LU
	scratch_load_b32 v29, off, off offset:1108 th:TH_LOAD_LU
	scratch_load_b32 v224, off, off offset:356
	.loc	1 62 26                         ; attention_bwd.py:62:26 @[ attention_bwd.py:200:26 ]
	v_pack_b32_f16 v7, v5, v6
	v_pack_b32_f16 v6, v4, v8
	.loc	1 61 21                         ; attention_bwd.py:61:21 @[ attention_bwd.py:200:26 ]
	v_cvt_f16_f32_e32 v4, v14
	v_cvt_f16_f32_e32 v5, v15
	scratch_load_b32 v236, off, off offset:796 th:TH_LOAD_LU ; 4-byte Folded Reload
	v_cvt_f16_f32_e64 v136, v22
	.loc	1 62 26                         ; attention_bwd.py:62:26 @[ attention_bwd.py:200:26 ]
	v_pack_b32_f16 v5, v4, v5
	.loc	1 61 21                         ; attention_bwd.py:61:21 @[ attention_bwd.py:200:26 ]
	v_cvt_f16_f32_e64 v4, v146
	s_delay_alu instid0(VALU_DEP_1)
	.loc	1 62 26                         ; attention_bwd.py:62:26 @[ attention_bwd.py:200:26 ]
	v_pack_b32_f16 v4, v0, v4
	.loc	1 58 21                         ; attention_bwd.py:58:21 @[ attention_bwd.py:200:26 ]
	s_wait_dscnt 0xc
	ds_load_u16_d16_hi v9, v231 offset:4576
	ds_load_u16 v8, v231 offset:4192
	ds_load_u16 v132, v231 offset:4128
	s_wait_dscnt 0xe
	ds_load_u16_d16_hi v19, v231 offset:4800
	s_wait_dscnt 0xe
	ds_load_u16_d16_hi v20, v231 offset:5056
	ds_load_u16 v0, v231 offset:6144
	s_wait_dscnt 0xf
	ds_load_u16_d16_hi v131, v231 offset:4992
	s_wait_dscnt 0xf
	ds_load_u16_d16_hi v130, v231 offset:4736
	;; [unrolled: 2-line block ×5, first 2 shown]
	ds_load_u16_d16_hi v133, v231 offset:4512
	ds_load_u16_d16_hi v18, v231 offset:4544
	;; [unrolled: 1-line block ×5, first 2 shown]
	s_wait_dscnt 0xd
	ds_load_u16_d16_hi v132, v231 offset:4256
	ds_load_u16_d16_hi v17, v231 offset:4288
	;; [unrolled: 1-line block ×3, first 2 shown]
	s_wait_dscnt 0xd
	ds_load_u16_d16_hi v0, v231 offset:6272
	ds_load_u16 v13, v231 offset:6176
	.loc	1 62 26                         ; attention_bwd.py:62:26 @[ attention_bwd.py:200:26 ]
	s_wait_dscnt 0x2
	v_wmma_f32_16x16x16_f16 v[120:127], v[8:11], v[4:7], v[120:127]
	s_wait_loadcnt 0xf
	v_wmma_f32_16x16x16_f16 v[64:71], v[132:135], v[4:7], v[64:71]
	s_wait_loadcnt 0xd
	;; [unrolled: 2-line block ×3, first 2 shown]
	v_wmma_f32_16x16x16_f16 v[32:39], v[17:20], v[4:7], v[32:39]
	.loc	1 61 21                         ; attention_bwd.py:61:21 @[ attention_bwd.py:200:26 ]
	v_cvt_f16_f32_e32 v4, v1
	v_cvt_f16_f32_e64 v5, v235
	v_cvt_f16_f32_e64 v6, v199
	s_delay_alu instid0(VALU_DEP_1) | instskip(NEXT) | instid1(VALU_DEP_4)
	.loc	1 62 26                         ; attention_bwd.py:62:26 @[ attention_bwd.py:200:26 ]
	v_pack_b32_f16 v7, v5, v6
	v_pack_b32_f16 v6, v4, v137
	.loc	1 61 21                         ; attention_bwd.py:61:21 @[ attention_bwd.py:200:26 ]
	v_cvt_f16_f32_e32 v4, v23
	v_cvt_f16_f32_e64 v5, v197
	s_delay_alu instid0(VALU_DEP_1) | instskip(SKIP_1) | instid1(VALU_DEP_1)
	.loc	1 62 26                         ; attention_bwd.py:62:26 @[ attention_bwd.py:200:26 ]
	v_pack_b32_f16 v5, v4, v5
	.loc	1 61 21                         ; attention_bwd.py:61:21 @[ attention_bwd.py:200:26 ]
	v_cvt_f16_f32_e32 v4, v21
	.loc	1 62 26                         ; attention_bwd.py:62:26 @[ attention_bwd.py:200:26 ]
	v_pack_b32_f16 v4, v4, v136
	s_delay_alu instid0(VALU_DEP_1)
	v_wmma_f32_16x16x16_f16 v[164:171], v[128:131], v[4:7], v[164:171]
	v_wmma_f32_16x16x16_f16 v[104:111], v[132:135], v[4:7], v[104:111]
	;; [unrolled: 1-line block ×4, first 2 shown]
	.loc	1 68 21                         ; attention_bwd.py:68:21 @[ attention_bwd.py:200:26 ]
	s_clause 0x1                            ; 8-byte Folded Reload
	scratch_load_b32 v4, off, off offset:1336 th:TH_LOAD_LU
	scratch_load_b32 v8, off, off offset:1332 th:TH_LOAD_LU
	s_wait_loadcnt 0x1
	v_fma_mixlo_f16 v7, v142, v4, 0
	scratch_load_b32 v4, off, off offset:1328 th:TH_LOAD_LU ; 4-byte Folded Reload
	.loc	1 69 26                         ; attention_bwd.py:69:26 @[ attention_bwd.py:200:26 ]
	s_wait_loadcnt 0x1
	v_fma_mixhi_f16 v7, v143, v8, 0
	scratch_load_b32 v8, off, off offset:1324 th:TH_LOAD_LU ; 4-byte Folded Reload
	.loc	1 68 21                         ; attention_bwd.py:68:21 @[ attention_bwd.py:200:26 ]
	s_wait_loadcnt 0x1
	v_fma_mixlo_f16 v6, v141, v4, 0
	scratch_load_b32 v4, off, off offset:1320 th:TH_LOAD_LU ; 4-byte Folded Reload
	.loc	1 69 26                         ; attention_bwd.py:69:26 @[ attention_bwd.py:200:26 ]
	s_wait_loadcnt 0x1
	v_fma_mixhi_f16 v6, v144, v8, 0
	scratch_load_b32 v8, off, off offset:1316 th:TH_LOAD_LU ; 4-byte Folded Reload
	.loc	1 68 21                         ; attention_bwd.py:68:21 @[ attention_bwd.py:200:26 ]
	s_wait_loadcnt 0x1
	v_fma_mixlo_f16 v5, v14, v4, 0
	s_clause 0x1                            ; 8-byte Folded Reload
	scratch_load_b32 v14, off, off offset:1340
	scratch_load_b32 v4, off, off offset:1312 th:TH_LOAD_LU
	.loc	1 69 26                         ; attention_bwd.py:69:26 @[ attention_bwd.py:200:26 ]
	s_wait_loadcnt 0x2
	v_fma_mixhi_f16 v5, v15, v8, 0
	s_clause 0x1                            ; 8-byte Folded Reload
	scratch_load_b32 v8, off, off offset:1308 th:TH_LOAD_LU
	scratch_load_b32 v15, off, off offset:1348
	s_wait_loadcnt 0x0
	ds_load_b128 v[128:131], v15 offset:1024
	ds_load_b128 v[132:135], v15 offset:1056
	.loc	1 68 21                         ; attention_bwd.py:68:21 @[ attention_bwd.py:200:26 ]
	v_fma_mixlo_f16 v4, v145, v4, 0
	.loc	1 69 26                         ; attention_bwd.py:69:26 @[ attention_bwd.py:200:26 ]
	ds_load_b128 v[136:139], v15 offset:2048
	ds_load_b128 v[140:143], v15 offset:2080
	v_fma_mixhi_f16 v4, v146, v8, 0
	ds_load_b128 v[8:11], v15
	ds_load_b128 v[17:20], v15 offset:32
	ds_load_b128 v[144:147], v15 offset:3072
	;; [unrolled: 1-line block ×3, first 2 shown]
	s_wait_dscnt 0x7
	v_wmma_f32_16x16x16_f16 v[40:47], v[128:131], v[4:7], v[40:47]
	s_wait_dscnt 0x5
	v_wmma_f32_16x16x16_f16 v[96:103], v[136:139], v[4:7], v[96:103]
	;; [unrolled: 2-line block ×4, first 2 shown]
	.loc	1 68 21                         ; attention_bwd.py:68:21 @[ attention_bwd.py:200:26 ]
	scratch_load_b32 v4, off, off offset:1304 th:TH_LOAD_LU ; 4-byte Folded Reload
	s_wait_loadcnt 0x0
	v_fma_mixlo_f16 v7, v235, v4, 0
	s_clause 0x1                            ; 8-byte Folded Reload
	scratch_load_b32 v28, off, off offset:364
	scratch_load_b32 v4, off, off offset:1296 th:TH_LOAD_LU
	s_wait_loadcnt 0x0
	v_fma_mixlo_f16 v6, v1, v4, 0
	scratch_load_b32 v1, off, off offset:1284 th:TH_LOAD_LU ; 4-byte Folded Reload
	s_wait_loadcnt 0x0
	v_fma_mixlo_f16 v5, v23, v1, 0
	scratch_load_b32 v1, off, off offset:1268 th:TH_LOAD_LU ; 4-byte Folded Reload
	.loc	1 53 26                         ; attention_bwd.py:53:26 @[ attention_bwd.py:200:26 ]
	v_exp_f32_e32 v23, v27
	.loc	1 68 21                         ; attention_bwd.py:68:21 @[ attention_bwd.py:200:26 ]
	s_wait_loadcnt 0x0
	v_fma_mixlo_f16 v4, v21, v1, 0
	.loc	1 69 26                         ; attention_bwd.py:69:26 @[ attention_bwd.py:200:26 ]
	scratch_load_b32 v1, off, off offset:1300 th:TH_LOAD_LU ; 4-byte Folded Reload
	.loc	1 53 26                         ; attention_bwd.py:53:26 @[ attention_bwd.py:200:26 ]
	v_exp_f32_e32 v21, v161
	.loc	1 69 26                         ; attention_bwd.py:69:26 @[ attention_bwd.py:200:26 ]
	s_wait_loadcnt 0x0
	v_fma_mixhi_f16 v7, v199, v1, 0
	scratch_load_b32 v1, off, off offset:1292 th:TH_LOAD_LU ; 4-byte Folded Reload
	s_wait_loadcnt 0x0
	v_fma_mixhi_f16 v6, v234, v1, 0
	scratch_load_b32 v1, off, off offset:1276 th:TH_LOAD_LU ; 4-byte Folded Reload
	v_lshrrev_b32_e32 v234, 1, v14
	s_wait_loadcnt 0x0
	v_fma_mixhi_f16 v5, v197, v1, 0
	scratch_load_b32 v1, off, off offset:1260 th:TH_LOAD_LU ; 4-byte Folded Reload
	s_wait_loadcnt 0x0
	v_fma_mixhi_f16 v4, v22, v1, 0
	.loc	1 53 26                         ; attention_bwd.py:53:26 @[ attention_bwd.py:200:26 ]
	v_exp_f32_e32 v22, v160
	s_delay_alu instid0(VALU_DEP_1)
	.loc	1 69 26                         ; attention_bwd.py:69:26 @[ attention_bwd.py:200:26 ]
	v_wmma_f32_16x16x16_f16 v[48:55], v[8:11], v[4:7], v[48:55]
	.loc	1 53 26                         ; attention_bwd.py:53:26 @[ attention_bwd.py:200:26 ]
	v_exp_f32_e32 v8, v26
	.loc	1 69 26                         ; attention_bwd.py:69:26 @[ attention_bwd.py:200:26 ]
	v_wmma_f32_16x16x16_f16 v[56:63], v[128:131], v[4:7], v[56:63]
	.loc	1 53 26                         ; attention_bwd.py:53:26 @[ attention_bwd.py:200:26 ]
	v_exp_f32_e32 v128, v157
	v_exp_f32_e32 v129, v158
	.loc	1 69 26                         ; attention_bwd.py:69:26 @[ attention_bwd.py:200:26 ]
	v_wmma_f32_16x16x16_f16 v[210:217], v[136:139], v[4:7], v[210:217]
	v_wmma_f32_16x16x16_f16 v[172:179], v[144:147], v[4:7], v[172:179]
	.loc	1 61 21                         ; attention_bwd.py:61:21 @[ attention_bwd.py:200:26 ]
	v_cvt_f16_f32_e32 v4, v21
	v_cvt_f16_f32_e32 v5, v22
	;; [unrolled: 1-line block ×3, first 2 shown]
	.loc	1 53 26                         ; attention_bwd.py:53:26 @[ attention_bwd.py:200:26 ]
	v_exp_f32_e32 v130, v155
	.loc	1 61 21                         ; attention_bwd.py:61:21 @[ attention_bwd.py:200:26 ]
	v_cvt_f16_f32_e32 v1, v8
	.loc	1 53 26                         ; attention_bwd.py:53:26 @[ attention_bwd.py:200:26 ]
	v_exp_f32_e32 v131, v156
	.loc	1 62 26                         ; attention_bwd.py:62:26 @[ attention_bwd.py:200:26 ]
	v_pack_b32_f16 v7, v4, v5
	.loc	1 61 21                         ; attention_bwd.py:61:21 @[ attention_bwd.py:200:26 ]
	v_cvt_f16_f32_e64 v4, v129
	.loc	1 53 26                         ; attention_bwd.py:53:26 @[ attention_bwd.py:200:26 ]
	v_exp_f32_e32 v136, v237
	.loc	1 62 26                         ; attention_bwd.py:62:26 @[ attention_bwd.py:200:26 ]
	v_pack_b32_f16 v6, v1, v6
	.loc	1 61 21                         ; attention_bwd.py:61:21 @[ attention_bwd.py:200:26 ]
	v_cvt_f16_f32_e64 v1, v128
	.loc	1 53 26                         ; attention_bwd.py:53:26 @[ attention_bwd.py:200:26 ]
	v_exp_f32_e32 v137, v249
	v_exp_f32_e32 v138, v154
	;; [unrolled: 1-line block ×4, first 2 shown]
	.loc	1 62 26                         ; attention_bwd.py:62:26 @[ attention_bwd.py:200:26 ]
	v_pack_b32_f16 v5, v1, v4
	.loc	1 61 21                         ; attention_bwd.py:61:21 @[ attention_bwd.py:200:26 ]
	v_cvt_f16_f32_e64 v1, v130
	v_cvt_f16_f32_e64 v4, v131
	.loc	1 53 26                         ; attention_bwd.py:53:26 @[ attention_bwd.py:200:26 ]
	v_exp_f32_e32 v146, v193
	v_exp_f32_e32 v147, v194
	s_clause 0x2                            ; 12-byte Folded Reload
	scratch_load_b32 v156, off, off offset:772 th:TH_LOAD_LU
	scratch_load_b32 v237, off, off offset:800 th:TH_LOAD_LU
	;; [unrolled: 1-line block ×3, first 2 shown]
	.loc	1 62 26                         ; attention_bwd.py:62:26 @[ attention_bwd.py:200:26 ]
	v_pack_b32_f16 v4, v1, v4
	.loc	1 58 21                         ; attention_bwd.py:58:21 @[ attention_bwd.py:200:26 ]
	ds_load_u16 v239, v231 offset:6208
	ds_load_u16 v240, v231 offset:6464
	;; [unrolled: 1-line block ×8, first 2 shown]
	s_wait_dscnt 0x7
	ds_load_u16_d16_hi v239, v231 offset:6336
	s_wait_dscnt 0x7
	ds_load_u16_d16_hi v240, v231 offset:6592
	ds_load_u16_d16_hi v2, v231 offset:6784
	s_wait_dscnt 0x8
	ds_load_u16_d16_hi v1, v231 offset:6528
	;; [unrolled: 3-line block ×3, first 2 shown]
	s_wait_dscnt 0x9
	ds_load_u16_d16_hi v14, v231 offset:6560
	s_wait_dscnt 0x9
	ds_load_u16_d16_hi v10, v231 offset:6624
	s_wait_dscnt 0x9
	ds_load_u16_d16_hi v15, v231 offset:6816
	s_wait_dscnt 0x9
	ds_load_u16_d16_hi v11, v231 offset:6880
	ds_load_u16_d16_hi v16, v231 offset:7072
	.loc	1 61 21                         ; attention_bwd.py:61:21 @[ attention_bwd.py:200:26 ]
	v_cvt_f16_f32_e64 v144, v139
	v_cvt_f16_f32_e64 v154, v147
	s_clause 0x3                            ; 16-byte Folded Reload
	scratch_load_b32 v249, off, off offset:804 th:TH_LOAD_LU
	scratch_load_b32 v26, off, off offset:1124 th:TH_LOAD_LU
	;; [unrolled: 1-line block ×4, first 2 shown]
	v_mov_b32_e32 v158, v198
	.loc	1 62 26                         ; attention_bwd.py:62:26 @[ attention_bwd.py:200:26 ]
	s_wait_dscnt 0x9
	v_wmma_f32_16x16x16_f16 v[32:39], v[239:242], v[4:7], v[32:39]
	s_clause 0x1                            ; 32-byte Folded Spill
	scratch_store_b128 off, v[32:35], off offset:324
	scratch_store_b128 off, v[36:39], off offset:340
	s_wait_dscnt 0x7
	v_wmma_f32_16x16x16_f16 v[80:87], v[0:3], v[4:7], v[80:87]
	s_clause 0x1                            ; 32-byte Folded Spill
	scratch_store_b128 off, v[80:83], off offset:292
	scratch_store_b128 off, v[84:87], off offset:308
	s_wait_dscnt 0x0
	v_wmma_f32_16x16x16_f16 v[64:71], v[13:16], v[4:7], v[64:71]
	v_wmma_f32_16x16x16_f16 v[120:127], v[9:12], v[4:7], v[120:127]
	.loc	1 61 21                         ; attention_bwd.py:61:21 @[ attention_bwd.py:200:26 ]
	v_cvt_f16_f32_e64 v4, v136
	v_cvt_f16_f32_e64 v5, v137
	;; [unrolled: 1-line block ×3, first 2 shown]
	s_clause 0x1                            ; 32-byte Folded Spill
	scratch_store_b128 off, v[64:67], off offset:260
	scratch_store_b128 off, v[68:71], off offset:276
	.loc	1 62 26                         ; attention_bwd.py:62:26 @[ attention_bwd.py:200:26 ]
	v_pack_b32_f16 v7, v5, v6
	v_pack_b32_f16 v6, v4, v144
	.loc	1 53 26                         ; attention_bwd.py:53:26 @[ attention_bwd.py:200:26 ]
	v_exp_f32_e32 v144, v195
	.loc	1 61 21                         ; attention_bwd.py:61:21 @[ attention_bwd.py:200:26 ]
	v_cvt_f16_f32_e64 v5, v145
	s_delay_alu instid0(TRANS32_DEP_1) | instskip(NEXT) | instid1(VALU_DEP_1)
	v_cvt_f16_f32_e64 v4, v144
	.loc	1 62 26                         ; attention_bwd.py:62:26 @[ attention_bwd.py:200:26 ]
	v_pack_b32_f16 v5, v4, v5
	.loc	1 61 21                         ; attention_bwd.py:61:21 @[ attention_bwd.py:200:26 ]
	v_cvt_f16_f32_e64 v4, v146
	s_delay_alu instid0(VALU_DEP_1)
	.loc	1 62 26                         ; attention_bwd.py:62:26 @[ attention_bwd.py:200:26 ]
	v_pack_b32_f16 v4, v4, v154
	scratch_load_b32 v154, off, off offset:764 th:TH_LOAD_LU ; 4-byte Folded Reload
	v_wmma_f32_16x16x16_f16 v[164:171], v[0:3], v[4:7], v[164:171]
	.loc	1 68 21                         ; attention_bwd.py:68:21 @[ attention_bwd.py:200:26 ]
	scratch_load_b32 v0, off, off offset:1244 th:TH_LOAD_LU ; 4-byte Folded Reload
	.loc	1 62 26                         ; attention_bwd.py:62:26 @[ attention_bwd.py:200:26 ]
	v_wmma_f32_16x16x16_f16 v[104:111], v[13:16], v[4:7], v[104:111]
	v_wmma_f32_16x16x16_f16 v[112:119], v[239:242], v[4:7], v[112:119]
	;; [unrolled: 1-line block ×3, first 2 shown]
	.loc	1 69 26                         ; attention_bwd.py:69:26 @[ attention_bwd.py:200:26 ]
	scratch_load_b32 v4, off, off offset:1220 th:TH_LOAD_LU ; 4-byte Folded Reload
	.loc	1 68 21                         ; attention_bwd.py:68:21 @[ attention_bwd.py:200:26 ]
	s_wait_loadcnt 0x1
	v_fma_mixlo_f16 v3, v21, v0, 0
	scratch_load_b32 v0, off, off offset:1212 th:TH_LOAD_LU ; 4-byte Folded Reload
	.loc	1 69 26                         ; attention_bwd.py:69:26 @[ attention_bwd.py:200:26 ]
	s_wait_loadcnt 0x1
	v_fma_mixhi_f16 v3, v22, v4, 0
	scratch_load_b32 v4, off, off offset:1188 th:TH_LOAD_LU ; 4-byte Folded Reload
	.loc	1 68 21                         ; attention_bwd.py:68:21 @[ attention_bwd.py:200:26 ]
	s_wait_loadcnt 0x1
	v_fma_mixlo_f16 v2, v8, v0, 0
	scratch_load_b32 v0, off, off offset:1180 th:TH_LOAD_LU ; 4-byte Folded Reload
	.loc	1 69 26                         ; attention_bwd.py:69:26 @[ attention_bwd.py:200:26 ]
	s_wait_loadcnt 0x1
	v_fma_mixhi_f16 v2, v23, v4, 0
	;; [unrolled: 8-line block ×3, first 2 shown]
	scratch_load_b32 v4, off, off offset:256 th:TH_LOAD_LU ; 4-byte Folded Reload
	.loc	1 68 21                         ; attention_bwd.py:68:21 @[ attention_bwd.py:200:26 ]
	s_wait_loadcnt 0x1
	v_fma_mixlo_f16 v0, v130, v0, 0
	.loc	1 69 26                         ; attention_bwd.py:69:26 @[ attention_bwd.py:200:26 ]
	s_wait_loadcnt 0x0
	s_delay_alu instid0(VALU_DEP_1) | instskip(NEXT) | instid1(VALU_DEP_1)
	v_fma_mixhi_f16 v0, v131, v4, 0
	v_wmma_f32_16x16x16_f16 v[72:79], v[17:20], v[0:3], v[72:79]
	v_wmma_f32_16x16x16_f16 v[40:47], v[132:135], v[0:3], v[40:47]
	;; [unrolled: 1-line block ×4, first 2 shown]
	.loc	1 68 21                         ; attention_bwd.py:68:21 @[ attention_bwd.py:200:26 ]
	scratch_load_b32 v0, off, off offset:1252 th:TH_LOAD_LU ; 4-byte Folded Reload
	s_wait_loadcnt 0x0
	v_fma_mixlo_f16 v3, v137, v0, 0
	scratch_load_b32 v0, off, off offset:1228 th:TH_LOAD_LU ; 4-byte Folded Reload
	s_wait_loadcnt 0x0
	v_fma_mixlo_f16 v2, v136, v0, 0
	;; [unrolled: 3-line block ×3, first 2 shown]
	s_clause 0x1                            ; 8-byte Folded Reload
	scratch_load_b32 v144, off, off offset:544 th:TH_LOAD_LU
	scratch_load_b32 v0, off, off offset:1164 th:TH_LOAD_LU
	s_wait_loadcnt 0x0
	v_fma_mixlo_f16 v0, v146, v0, 0
	.loc	1 69 26                         ; attention_bwd.py:69:26 @[ attention_bwd.py:200:26 ]
	s_clause 0x1                            ; 8-byte Folded Reload
	scratch_load_b32 v146, off, off offset:608 th:TH_LOAD_LU
	scratch_load_b32 v4, off, off offset:1236 th:TH_LOAD_LU
	s_wait_loadcnt 0x0
	v_fma_mixhi_f16 v3, v138, v4, 0
	s_clause 0x1                            ; 8-byte Folded Reload
	scratch_load_b32 v138, off, off offset:368 th:TH_LOAD_LU
	scratch_load_b32 v4, off, off offset:1204 th:TH_LOAD_LU
	s_wait_loadcnt 0x0
	v_fma_mixhi_f16 v2, v139, v4, 0
	;; [unrolled: 5-line block ×4, first 2 shown]
	.loc	1 51 24                         ; attention_bwd.py:51:24 @[ attention_bwd.py:200:26 ]
	v_add_nc_u32_e32 v4, s1, v234
	scratch_load_b32 v147, off, off offset:640 th:TH_LOAD_LU ; 4-byte Folded Reload
	.loc	1 69 26                         ; attention_bwd.py:69:26 @[ attention_bwd.py:200:26 ]
	v_wmma_f32_16x16x16_f16 v[48:55], v[17:20], v[0:3], v[48:55]
	v_wmma_f32_16x16x16_f16 v[56:63], v[132:135], v[0:3], v[56:63]
	;; [unrolled: 1-line block ×4, first 2 shown]
	v_add_co_u32 v0, s5, s1, v234
	.loc	1 51 24                         ; attention_bwd.py:51:24 @[ attention_bwd.py:200:26 ]
	v_ashrrev_i32_e32 v5, 31, v4
	s_clause 0x9                            ; 40-byte Folded Reload
	scratch_load_b32 v133, off, off offset:780 th:TH_LOAD_LU
	scratch_load_b32 v155, off, off offset:768 th:TH_LOAD_LU
	;; [unrolled: 1-line block ×10, first 2 shown]
	.loc	1 47 25                         ; attention_bwd.py:47:25 @[ attention_bwd.py:200:26 ]
	s_add_co_i32 s1, s1, 32
	s_wait_alu depctr_sa_sdst(0)
	s_cmp_lg_u32 s20, 0
	v_add_co_ci_u32_e64 v1, null, s4, 0, s5
	.loc	1 51 24                         ; attention_bwd.py:51:24 @[ attention_bwd.py:200:26 ]
	v_lshlrev_b64_e32 v[4:5], 2, v[4:5]
	v_dual_mov_b32 v80, v172 :: v_dual_mov_b32 v81, v173
	v_dual_mov_b32 v82, v174 :: v_dual_mov_b32 v83, v175
	;; [unrolled: 1-line block ×4, first 2 shown]
	v_lshlrev_b64_e32 v[0:1], 2, v[0:1]
	s_delay_alu instid0(VALU_DEP_1) | instskip(SKIP_1) | instid1(VALU_DEP_2)
	v_add_co_u32 v2, vcc_lo, s2, v0
	s_wait_alu depctr_va_vcc(0)
	v_add_co_ci_u32_e64 v3, null, s3, v1, vcc_lo
	.loc	1 64 25                         ; attention_bwd.py:64:25 @[ attention_bwd.py:200:26 ]
	v_add_co_u32 v0, vcc_lo, s22, v0
	s_wait_alu depctr_va_vcc(0)
	v_add_co_ci_u32_e64 v1, null, s23, v1, vcc_lo
	.loc	1 51 24                         ; attention_bwd.py:51:24 @[ attention_bwd.py:200:26 ]
	;; [unrolled: 4-line block ×5, first 2 shown]
	global_load_u16 v10, v[8:9], off
	.loc	1 73 19                         ; attention_bwd.py:73:19 @[ attention_bwd.py:200:26 ]
	v_add_co_u32 v8, vcc_lo, v190, s16
	s_wait_alu depctr_va_vcc(0)
	v_add_co_ci_u32_e64 v9, null, s17, v228, vcc_lo
	.loc	1 58 21                         ; attention_bwd.py:58:21 @[ attention_bwd.py:200:26 ]
	global_load_u16 v11, v[8:9], off
	.loc	1 73 19                         ; attention_bwd.py:73:19 @[ attention_bwd.py:200:26 ]
	v_add_co_u32 v8, vcc_lo, v245, s16
	s_wait_alu depctr_va_vcc(0)
	v_add_co_ci_u32_e64 v9, null, s17, v148, vcc_lo
	.loc	1 58 21                         ; attention_bwd.py:58:21 @[ attention_bwd.py:200:26 ]
	global_load_u16 v12, v[8:9], off
	.loc	1 73 19                         ; attention_bwd.py:73:19 @[ attention_bwd.py:200:26 ]
	v_add_co_u32 v8, vcc_lo, v24, s16
	s_wait_alu depctr_va_vcc(0)
	v_add_co_ci_u32_e64 v9, null, s17, v192, vcc_lo
	.loc	1 58 21                         ; attention_bwd.py:58:21 @[ attention_bwd.py:200:26 ]
	global_load_u16 v13, v[8:9], off
	.loc	1 73 19                         ; attention_bwd.py:73:19 @[ attention_bwd.py:200:26 ]
	v_add_co_u32 v8, vcc_lo, v187, s16
	s_wait_alu depctr_va_vcc(0)
	v_add_co_ci_u32_e64 v9, null, s17, v188, vcc_lo
	.loc	1 58 21                         ; attention_bwd.py:58:21 @[ attention_bwd.py:200:26 ]
	global_load_u16 v14, v[8:9], off
	.loc	1 73 19                         ; attention_bwd.py:73:19 @[ attention_bwd.py:200:26 ]
	v_add_co_u32 v8, vcc_lo, v185, s16
	s_wait_alu depctr_va_vcc(0)
	v_add_co_ci_u32_e64 v9, null, s17, v186, vcc_lo
	.loc	1 58 21                         ; attention_bwd.py:58:21 @[ attention_bwd.py:200:26 ]
	global_load_u16 v15, v[8:9], off
	scratch_load_b32 v27, off, off offset:1132 th:TH_LOAD_LU ; 4-byte Folded Reload
	.loc	1 73 19                         ; attention_bwd.py:73:19 @[ attention_bwd.py:200:26 ]
	s_wait_loadcnt 0x0
	v_add_co_u32 v8, vcc_lo, v27, s16
	s_wait_alu depctr_va_vcc(0)
	v_add_co_ci_u32_e64 v9, null, s17, v26, vcc_lo
	.loc	1 58 21                         ; attention_bwd.py:58:21 @[ attention_bwd.py:200:26 ]
	global_load_u16 v16, v[8:9], off
	scratch_load_b32 v30, off, off offset:1116 th:TH_LOAD_LU ; 4-byte Folded Reload
	.loc	1 73 19                         ; attention_bwd.py:73:19 @[ attention_bwd.py:200:26 ]
	s_wait_loadcnt 0x0
	v_add_co_u32 v8, vcc_lo, v30, s16
	s_wait_alu depctr_va_vcc(0)
	v_add_co_ci_u32_e64 v9, null, s17, v29, vcc_lo
	.loc	1 58 21                         ; attention_bwd.py:58:21 @[ attention_bwd.py:200:26 ]
	global_load_u16 v17, v[8:9], off
	.loc	1 73 19                         ; attention_bwd.py:73:19 @[ attention_bwd.py:200:26 ]
	v_add_co_u32 v8, vcc_lo, v209, s16
	s_wait_alu depctr_va_vcc(0)
	v_add_co_ci_u32_e64 v9, null, s17, v180, vcc_lo
	.loc	1 58 21                         ; attention_bwd.py:58:21 @[ attention_bwd.py:200:26 ]
	global_load_u16 v18, v[8:9], off
	.loc	1 73 19                         ; attention_bwd.py:73:19 @[ attention_bwd.py:200:26 ]
	v_add_co_u32 v8, vcc_lo, v159, s16
	s_wait_alu depctr_va_vcc(0)
	v_add_co_ci_u32_e64 v9, null, s17, v208, vcc_lo
	.loc	1 58 21                         ; attention_bwd.py:58:21 @[ attention_bwd.py:200:26 ]
	global_load_u16 v19, v[8:9], off
	scratch_load_b32 v242, off, off offset:360 ; 4-byte Folded Reload
	.loc	1 73 19                         ; attention_bwd.py:73:19 @[ attention_bwd.py:200:26 ]
	s_wait_loadcnt 0x0
	v_add_co_u32 v8, vcc_lo, v242, s16
	s_wait_alu depctr_va_vcc(0)
	v_add_co_ci_u32_e64 v9, null, s17, v229, vcc_lo
	.loc	1 58 21                         ; attention_bwd.py:58:21 @[ attention_bwd.py:200:26 ]
	global_load_u16 v20, v[8:9], off
	.loc	1 73 19                         ; attention_bwd.py:73:19 @[ attention_bwd.py:200:26 ]
	v_add_co_u32 v8, vcc_lo, v249, s16
	s_wait_alu depctr_va_vcc(0)
	v_add_co_ci_u32_e64 v9, null, s17, v224, vcc_lo
	.loc	1 58 21                         ; attention_bwd.py:58:21 @[ attention_bwd.py:200:26 ]
	global_load_u16 v21, v[8:9], off
	.loc	1 73 19                         ; attention_bwd.py:73:19 @[ attention_bwd.py:200:26 ]
	;; [unrolled: 6-line block ×5, first 2 shown]
	v_add_co_u32 v8, vcc_lo, v133, s16
	s_wait_alu depctr_va_vcc(0)
	v_add_co_ci_u32_e64 v9, null, s17, v158, vcc_lo
	.loc	1 47 25                         ; attention_bwd.py:47:25 @[ attention_bwd.py:200:26 ]
	v_add_co_u32 v133, vcc_lo, v133, s48
	s_wait_alu depctr_va_vcc(0)
	v_add_co_ci_u32_e64 v158, null, s49, v158, vcc_lo
	v_add_co_u32 v196, vcc_lo, v196, s48
	s_wait_alu depctr_va_vcc(0)
	v_add_co_ci_u32_e64 v225, null, s49, v225, vcc_lo
	v_add_co_u32 v226, vcc_lo, v226, s48
	.loc	1 58 21                         ; attention_bwd.py:58:21 @[ attention_bwd.py:200:26 ]
	global_load_u16 v8, v[8:9], off
	.loc	1 51 20                         ; attention_bwd.py:51:20 @[ attention_bwd.py:200:26 ]
	global_load_b32 v172, v[6:7], off
	.loc	1 64 21                         ; attention_bwd.py:64:21 @[ attention_bwd.py:200:26 ]
	global_load_b32 v4, v[4:5], off
	.loc	1 47 25                         ; attention_bwd.py:47:25 @[ attention_bwd.py:200:26 ]
	s_wait_alu depctr_va_vcc(0)
	v_add_co_ci_u32_e64 v28, null, s49, v28, vcc_lo
	v_add_co_u32 v236, vcc_lo, v236, s48
	s_wait_alu depctr_va_vcc(0)
	v_add_co_ci_u32_e64 v237, null, s49, v237, vcc_lo
	v_add_co_u32 v249, vcc_lo, v249, s48
	;; [unrolled: 3-line block ×3, first 2 shown]
	.loc	1 51 20                         ; attention_bwd.py:51:20 @[ attention_bwd.py:200:26 ]
	s_wait_loadcnt 0x0
	scratch_store_b32 off, v4, off offset:256 ; 4-byte Folded Spill
	s_clause 0x3
	global_load_b96 v[197:199], v[2:3], off offset:20
	global_load_b128 v[238:241], v[2:3], off offset:4
	global_load_b128 v[160:163], v[2:3], off offset:64
	;; [unrolled: 1-line block ×3, first 2 shown]
	.loc	1 64 21                         ; attention_bwd.py:64:21 @[ attention_bwd.py:200:26 ]
	s_clause 0x3
	global_load_b96 v[193:195], v[0:1], off offset:20
	global_load_b128 v[134:137], v[0:1], off offset:4
	global_load_b128 v[3:6], v[0:1], off offset:64
	;; [unrolled: 1-line block ×3, first 2 shown]
	v_mov_b32_e32 v2, v27
	.loc	1 48 21                         ; attention_bwd.py:48:21 @[ attention_bwd.py:200:26 ]
	s_wait_loadcnt 0x0
	s_wait_storecnt 0x0
	s_barrier_signal -1
	s_barrier_wait -1
	global_inv scope:SCOPE_SE
	scratch_load_b32 v0, off, off offset:952 th:TH_LOAD_LU ; 4-byte Folded Reload
	.loc	1 58 21                         ; attention_bwd.py:58:21 @[ attention_bwd.py:200:26 ]
	ds_store_b16 v244, v12 offset:4608
	ds_store_b16 v244, v17 offset:5888
	;; [unrolled: 1-line block ×3, first 2 shown]
	s_clause 0x2                            ; 12-byte Folded Reload
	scratch_load_b32 v12, off, off offset:872 th:TH_LOAD_LU
	scratch_load_b32 v17, off, off offset:920 th:TH_LOAD_LU
	;; [unrolled: 1-line block ×3, first 2 shown]
	ds_store_b16 v244, v18 offset:6144
	ds_store_b16 v244, v19 offset:6400
	s_clause 0x1                            ; 8-byte Folded Reload
	scratch_load_b32 v19, off, off offset:904 th:TH_LOAD_LU
	scratch_load_b32 v33, off, off offset:888 th:TH_LOAD_LU
	ds_store_b16 v244, v15 offset:5376
	ds_store_b16 v244, v16 offset:5632
	v_dual_mov_b32 v16, v233 :: v_dual_mov_b32 v233, v30
	s_clause 0x2                            ; 12-byte Folded Spill
	scratch_store_b32 off, v224, off offset:356
	scratch_store_b32 off, v28, off offset:364
	;; [unrolled: 1-line block ×3, first 2 shown]
	v_mov_b32_e32 v242, v26
	ds_store_b16 v244, v21 offset:6912
	ds_store_b16 v244, v22 offset:7168
	;; [unrolled: 1-line block ×6, first 2 shown]
	v_mov_b32_e32 v13, v246
	ds_store_b16 v244, v14 offset:5120
	v_mov_b32_e32 v14, v230
	.loc	1 48 21                         ; attention_bwd.py:48:21 @[ attention_bwd.py:200:26 ]
	s_wait_loadcnt 0x5
	ds_store_b16 v244, v0
	scratch_load_b32 v0, off, off offset:968 th:TH_LOAD_LU ; 4-byte Folded Reload
	s_wait_loadcnt 0x0
	ds_store_b16 v244, v0 offset:256
	scratch_load_b32 v0, off, off offset:984 th:TH_LOAD_LU ; 4-byte Folded Reload
	s_wait_loadcnt 0x0
	ds_store_b16 v244, v0 offset:512
	;; [unrolled: 3-line block ×15, first 2 shown]
	.loc	1 58 21                         ; attention_bwd.py:58:21 @[ attention_bwd.py:200:26 ]
	ds_store_b16 v244, v10 offset:4096
	ds_store_b16 v244, v11 offset:4352
	v_mov_b32_e32 v11, v189
	.loc	1 47 25                         ; attention_bwd.py:47:25 @[ attention_bwd.py:200:26 ]
	s_wait_alu depctr_va_vcc(0)
	v_add_co_ci_u32_e64 v189, null, s49, v229, vcc_lo
	v_add_co_u32 v159, vcc_lo, v159, s48
	v_mov_b32_e32 v229, v29
	v_mov_b32_e32 v7, v129
	v_dual_mov_b32 v9, v131 :: v_dual_mov_b32 v8, v130
	v_mov_b32_e32 v10, v132
	s_wait_alu depctr_va_vcc(0)
	v_add_co_ci_u32_e64 v208, null, s49, v208, vcc_lo
	v_add_co_u32 v209, vcc_lo, v209, s48
	s_wait_alu depctr_va_vcc(0)
	v_add_co_ci_u32_e64 v180, null, s49, v180, vcc_lo
	v_add_co_u32 v30, vcc_lo, v233, s48
	;; [unrolled: 3-line block ×25, first 2 shown]
	s_wait_alu depctr_va_vcc(0)
	v_add_co_ci_u32_e64 v157, null, s49, v157, vcc_lo
	s_cbranch_scc1 .LBB0_94
; %bb.95:                               ; %Flow1643
	.loc	1 0 25 is_stmt 0                ; attention_bwd.py:0:25
	s_clause 0x15                           ; 352-byte Folded Spill
	scratch_store_b128 off, v[200:203], off offset:448
	scratch_store_b128 off, v[204:207], off offset:464
	;; [unrolled: 1-line block ×22, first 2 shown]
	s_clause 0xb                            ; 124-byte Folded Reload
	scratch_load_b128 v[96:99], off, off offset:260
	scratch_load_b128 v[100:103], off, off offset:276
	;; [unrolled: 1-line block ×6, first 2 shown]
	scratch_load_b32 v225, off, off offset:1628
	scratch_load_b32 v228, off, off offset:1632
	;; [unrolled: 1-line block ×3, first 2 shown]
	scratch_load_b64 v[245:246], off, off offset:1616
	scratch_load_b32 v249, off, off offset:1624
	scratch_load_b32 v196, off, off offset:1344
	v_readlane_b32 s4, v250, 27
	v_readlane_b32 s10, v251, 1
	;; [unrolled: 1-line block ×4, first 2 shown]
	v_dual_mov_b32 v211, v79 :: v_dual_mov_b32 v210, v78
	v_readlane_b32 s73, v251, 4
	v_readlane_b32 s74, v251, 5
	;; [unrolled: 1-line block ×12, first 2 shown]
	s_mov_b64 s[18:19], s[10:11]
	s_clause 0x2                            ; 44-byte Folded Spill
	scratch_store_b128 off, v[134:137], off offset:368
	scratch_store_b96 off, v[197:199], off offset:752
	scratch_store_b128 off, v[238:241], off offset:736
	v_dual_mov_b32 v209, v77 :: v_dual_mov_b32 v208, v76
	v_dual_mov_b32 v207, v75 :: v_dual_mov_b32 v206, v74
	v_dual_mov_b32 v205, v73 :: v_dual_mov_b32 v204, v72
	s_wait_loadcnt 0x1
	v_or_b32_e32 v248, 64, v249
	s_branch .LBB0_135
.LBB0_96:
	s_delay_alu instid0(VALU_DEP_1)
	.loc	1 41 49 is_stmt 1               ; attention_bwd.py:41:49 @[ attention_bwd.py:200:26 ]
	v_readlane_b32 s4, v250, 2
	v_readlane_b32 s5, v250, 3
	s_lshl_b64 s[70:71], s[4:5], 1
	s_wait_alu depctr_sa_sdst(0)
	v_add_co_u32 v0, vcc_lo, v128, s70
	s_wait_alu depctr_va_vcc(0)
	v_add_co_ci_u32_e64 v1, null, s71, v129, vcc_lo
	.loc	1 48 21                         ; attention_bwd.py:48:21 @[ attention_bwd.py:200:26 ]
	global_load_u16 v150, v[0:1], off
	v_dual_mov_b32 v152, 0 :: v_dual_mov_b32 v153, 0
	.loc	1 58 21                         ; attention_bwd.py:58:21 @[ attention_bwd.py:200:26 ]
	s_and_b32 vcc_lo, exec_lo, s0
	s_wait_alu depctr_sa_sdst(0)
	s_cbranch_vccnz .LBB0_34
.LBB0_97:
	.loc	1 38 23                         ; attention_bwd.py:38:23 @[ attention_bwd.py:200:26 ]
	s_or_b32 s4, s69, s104
	.loc	1 42 37                         ; attention_bwd.py:42:37 @[ attention_bwd.py:200:26 ]
	s_wait_alu depctr_sa_sdst(0)
	s_mul_i32 s70, s18, s4
	.loc	1 42 19 is_stmt 0               ; attention_bwd.py:42:19 @[ attention_bwd.py:200:26 ]
	s_wait_alu depctr_sa_sdst(0)
	s_ashr_i32 s71, s70, 31
	s_wait_alu depctr_sa_sdst(0)
	s_lshl_b64 s[70:71], s[70:71], 1
	s_wait_alu depctr_sa_sdst(0)
	s_add_nc_u64 s[70:71], s[6:7], s[70:71]
	.loc	1 42 50                         ; attention_bwd.py:42:50 @[ attention_bwd.py:200:26 ]
	s_wait_alu depctr_sa_sdst(0)
	v_add_co_u32 v0, vcc_lo, s70, v245
	s_wait_alu depctr_va_vcc(0)
	v_add_co_ci_u32_e64 v1, null, s71, v246, vcc_lo
	.loc	1 58 21 is_stmt 1               ; attention_bwd.py:58:21 @[ attention_bwd.py:200:26 ]
	global_load_u16 v153, v[0:1], off
	s_and_b32 vcc_lo, exec_lo, s0
	s_wait_alu depctr_sa_sdst(0)
	s_cbranch_vccnz .LBB0_35
.LBB0_98:
	.loc	1 38 23                         ; attention_bwd.py:38:23 @[ attention_bwd.py:200:26 ]
	s_or_b32 s4, s53, s69
	.loc	1 42 37                         ; attention_bwd.py:42:37 @[ attention_bwd.py:200:26 ]
	s_wait_alu depctr_sa_sdst(0)
	s_mul_i32 s70, s18, s4
	.loc	1 42 19 is_stmt 0               ; attention_bwd.py:42:19 @[ attention_bwd.py:200:26 ]
	s_wait_alu depctr_sa_sdst(0)
	s_ashr_i32 s71, s70, 31
	s_wait_alu depctr_sa_sdst(0)
	s_lshl_b64 s[70:71], s[70:71], 1
	s_wait_alu depctr_sa_sdst(0)
	s_add_nc_u64 s[70:71], s[6:7], s[70:71]
	.loc	1 42 50                         ; attention_bwd.py:42:50 @[ attention_bwd.py:200:26 ]
	s_wait_alu depctr_sa_sdst(0)
	v_add_co_u32 v0, vcc_lo, s70, v245
	s_wait_alu depctr_va_vcc(0)
	v_add_co_ci_u32_e64 v1, null, s71, v246, vcc_lo
	.loc	1 58 21 is_stmt 1               ; attention_bwd.py:58:21 @[ attention_bwd.py:200:26 ]
	global_load_u16 v152, v[0:1], off
	v_dual_mov_b32 v154, 0 :: v_dual_mov_b32 v155, 0
	s_and_b32 vcc_lo, exec_lo, s0
	s_wait_alu depctr_sa_sdst(0)
	s_cbranch_vccnz .LBB0_36
.LBB0_99:
	.loc	1 38 23                         ; attention_bwd.py:38:23 @[ attention_bwd.py:200:26 ]
	v_readlane_b32 s4, v250, 4
	s_or_b32 s4, s4, s69
	.loc	1 42 37                         ; attention_bwd.py:42:37 @[ attention_bwd.py:200:26 ]
	s_wait_alu depctr_sa_sdst(0)
	s_mul_i32 s66, s18, s4
	.loc	1 42 19 is_stmt 0               ; attention_bwd.py:42:19 @[ attention_bwd.py:200:26 ]
	s_wait_alu depctr_sa_sdst(0)
	s_ashr_i32 s67, s66, 31
	s_wait_alu depctr_sa_sdst(0)
	s_lshl_b64 s[66:67], s[66:67], 1
	s_wait_alu depctr_sa_sdst(0)
	s_add_nc_u64 s[66:67], s[6:7], s[66:67]
	.loc	1 42 50                         ; attention_bwd.py:42:50 @[ attention_bwd.py:200:26 ]
	s_wait_alu depctr_sa_sdst(0)
	v_add_co_u32 v0, vcc_lo, s66, v245
	s_wait_alu depctr_va_vcc(0)
	v_add_co_ci_u32_e64 v1, null, s67, v246, vcc_lo
	.loc	1 58 21 is_stmt 1               ; attention_bwd.py:58:21 @[ attention_bwd.py:200:26 ]
	global_load_u16 v155, v[0:1], off
	s_and_b32 vcc_lo, exec_lo, s0
	s_wait_alu depctr_sa_sdst(0)
	s_cbranch_vccnz .LBB0_37
.LBB0_100:
	.loc	1 38 23                         ; attention_bwd.py:38:23 @[ attention_bwd.py:200:26 ]
	v_readlane_b32 s4, v250, 5
	s_or_b32 s4, s4, s69
	.loc	1 42 37                         ; attention_bwd.py:42:37 @[ attention_bwd.py:200:26 ]
	s_wait_alu depctr_sa_sdst(0)
	s_mul_i32 s66, s18, s4
	.loc	1 42 19 is_stmt 0               ; attention_bwd.py:42:19 @[ attention_bwd.py:200:26 ]
	s_wait_alu depctr_sa_sdst(0)
	s_ashr_i32 s67, s66, 31
	s_wait_alu depctr_sa_sdst(0)
	s_lshl_b64 s[66:67], s[66:67], 1
	s_wait_alu depctr_sa_sdst(0)
	s_add_nc_u64 s[66:67], s[6:7], s[66:67]
	.loc	1 42 50                         ; attention_bwd.py:42:50 @[ attention_bwd.py:200:26 ]
	s_wait_alu depctr_sa_sdst(0)
	v_add_co_u32 v0, vcc_lo, s66, v245
	s_wait_alu depctr_va_vcc(0)
	v_add_co_ci_u32_e64 v1, null, s67, v246, vcc_lo
	.loc	1 58 21 is_stmt 1               ; attention_bwd.py:58:21 @[ attention_bwd.py:200:26 ]
	global_load_u16 v154, v[0:1], off
	v_dual_mov_b32 v156, 0 :: v_dual_mov_b32 v157, 0
	s_and_b32 vcc_lo, exec_lo, s0
	s_wait_alu depctr_sa_sdst(0)
	s_cbranch_vccnz .LBB0_38
.LBB0_101:
	.loc	1 38 23                         ; attention_bwd.py:38:23 @[ attention_bwd.py:200:26 ]
	v_readlane_b32 s4, v250, 7
	s_or_b32 s4, s4, s69
	.loc	1 42 37                         ; attention_bwd.py:42:37 @[ attention_bwd.py:200:26 ]
	s_wait_alu depctr_sa_sdst(0)
	s_mul_i32 s64, s18, s4
	.loc	1 42 19 is_stmt 0               ; attention_bwd.py:42:19 @[ attention_bwd.py:200:26 ]
	s_wait_alu depctr_sa_sdst(0)
	s_ashr_i32 s65, s64, 31
	s_wait_alu depctr_sa_sdst(0)
	s_lshl_b64 s[64:65], s[64:65], 1
	s_wait_alu depctr_sa_sdst(0)
	s_add_nc_u64 s[64:65], s[6:7], s[64:65]
	.loc	1 42 50                         ; attention_bwd.py:42:50 @[ attention_bwd.py:200:26 ]
	s_wait_alu depctr_sa_sdst(0)
	v_add_co_u32 v0, vcc_lo, s64, v245
	s_wait_alu depctr_va_vcc(0)
	v_add_co_ci_u32_e64 v1, null, s65, v246, vcc_lo
	.loc	1 58 21 is_stmt 1               ; attention_bwd.py:58:21 @[ attention_bwd.py:200:26 ]
	global_load_u16 v157, v[0:1], off
	s_and_b32 vcc_lo, exec_lo, s0
	s_wait_alu depctr_sa_sdst(0)
	s_cbranch_vccnz .LBB0_39
.LBB0_102:
	.loc	1 38 23                         ; attention_bwd.py:38:23 @[ attention_bwd.py:200:26 ]
	v_readlane_b32 s4, v250, 9
	s_or_b32 s4, s4, s69
	.loc	1 42 37                         ; attention_bwd.py:42:37 @[ attention_bwd.py:200:26 ]
	s_wait_alu depctr_sa_sdst(0)
	s_mul_i32 s64, s18, s4
	.loc	1 42 19 is_stmt 0               ; attention_bwd.py:42:19 @[ attention_bwd.py:200:26 ]
	s_wait_alu depctr_sa_sdst(0)
	s_ashr_i32 s65, s64, 31
	s_wait_alu depctr_sa_sdst(0)
	s_lshl_b64 s[64:65], s[64:65], 1
	s_wait_alu depctr_sa_sdst(0)
	s_add_nc_u64 s[64:65], s[6:7], s[64:65]
	.loc	1 42 50                         ; attention_bwd.py:42:50 @[ attention_bwd.py:200:26 ]
	s_wait_alu depctr_sa_sdst(0)
	v_add_co_u32 v0, vcc_lo, s64, v245
	s_wait_alu depctr_va_vcc(0)
	v_add_co_ci_u32_e64 v1, null, s65, v246, vcc_lo
	.loc	1 58 21 is_stmt 1               ; attention_bwd.py:58:21 @[ attention_bwd.py:200:26 ]
	global_load_u16 v156, v[0:1], off
	v_dual_mov_b32 v158, 0 :: v_dual_mov_b32 v159, 0
	s_and_b32 vcc_lo, exec_lo, s0
	s_wait_alu depctr_sa_sdst(0)
	s_cbranch_vccnz .LBB0_40
.LBB0_103:
	.loc	1 38 23                         ; attention_bwd.py:38:23 @[ attention_bwd.py:200:26 ]
	v_readlane_b32 s4, v250, 11
	s_or_b32 s4, s4, s69
	.loc	1 42 37                         ; attention_bwd.py:42:37 @[ attention_bwd.py:200:26 ]
	s_wait_alu depctr_sa_sdst(0)
	s_mul_i32 s62, s18, s4
	.loc	1 42 19 is_stmt 0               ; attention_bwd.py:42:19 @[ attention_bwd.py:200:26 ]
	s_wait_alu depctr_sa_sdst(0)
	s_ashr_i32 s63, s62, 31
	s_wait_alu depctr_sa_sdst(0)
	s_lshl_b64 s[62:63], s[62:63], 1
	s_wait_alu depctr_sa_sdst(0)
	s_add_nc_u64 s[62:63], s[6:7], s[62:63]
	.loc	1 42 50                         ; attention_bwd.py:42:50 @[ attention_bwd.py:200:26 ]
	s_wait_alu depctr_sa_sdst(0)
	v_add_co_u32 v0, vcc_lo, s62, v245
	s_wait_alu depctr_va_vcc(0)
	v_add_co_ci_u32_e64 v1, null, s63, v246, vcc_lo
	.loc	1 58 21 is_stmt 1               ; attention_bwd.py:58:21 @[ attention_bwd.py:200:26 ]
	global_load_u16 v159, v[0:1], off
	s_and_b32 vcc_lo, exec_lo, s0
	s_wait_alu depctr_sa_sdst(0)
	s_cbranch_vccnz .LBB0_41
.LBB0_104:
	.loc	1 38 23                         ; attention_bwd.py:38:23 @[ attention_bwd.py:200:26 ]
	v_readlane_b32 s4, v250, 13
	s_or_b32 s4, s4, s69
	.loc	1 42 37                         ; attention_bwd.py:42:37 @[ attention_bwd.py:200:26 ]
	s_wait_alu depctr_sa_sdst(0)
	s_mul_i32 s62, s18, s4
	.loc	1 42 19 is_stmt 0               ; attention_bwd.py:42:19 @[ attention_bwd.py:200:26 ]
	s_wait_alu depctr_sa_sdst(0)
	s_ashr_i32 s63, s62, 31
	s_wait_alu depctr_sa_sdst(0)
	s_lshl_b64 s[62:63], s[62:63], 1
	s_wait_alu depctr_sa_sdst(0)
	s_add_nc_u64 s[62:63], s[6:7], s[62:63]
	.loc	1 42 50                         ; attention_bwd.py:42:50 @[ attention_bwd.py:200:26 ]
	s_wait_alu depctr_sa_sdst(0)
	v_add_co_u32 v0, vcc_lo, s62, v245
	s_wait_alu depctr_va_vcc(0)
	v_add_co_ci_u32_e64 v1, null, s63, v246, vcc_lo
	.loc	1 58 21 is_stmt 1               ; attention_bwd.py:58:21 @[ attention_bwd.py:200:26 ]
	global_load_u16 v158, v[0:1], off
	v_dual_mov_b32 v23, 0 :: v_dual_mov_b32 v36, 0
	s_and_b32 vcc_lo, exec_lo, s0
	s_wait_alu depctr_sa_sdst(0)
	s_cbranch_vccnz .LBB0_42
.LBB0_105:
	.loc	1 38 23                         ; attention_bwd.py:38:23 @[ attention_bwd.py:200:26 ]
	v_readlane_b32 s4, v250, 15
	s_or_b32 s4, s4, s69
	.loc	1 42 37                         ; attention_bwd.py:42:37 @[ attention_bwd.py:200:26 ]
	s_wait_alu depctr_sa_sdst(0)
	s_mul_i32 s60, s18, s4
	.loc	1 42 19 is_stmt 0               ; attention_bwd.py:42:19 @[ attention_bwd.py:200:26 ]
	s_wait_alu depctr_sa_sdst(0)
	s_ashr_i32 s61, s60, 31
	s_wait_alu depctr_sa_sdst(0)
	s_lshl_b64 s[60:61], s[60:61], 1
	s_wait_alu depctr_sa_sdst(0)
	s_add_nc_u64 s[60:61], s[6:7], s[60:61]
	.loc	1 42 50                         ; attention_bwd.py:42:50 @[ attention_bwd.py:200:26 ]
	s_wait_alu depctr_sa_sdst(0)
	v_add_co_u32 v0, vcc_lo, s60, v245
	s_wait_alu depctr_va_vcc(0)
	v_add_co_ci_u32_e64 v1, null, s61, v246, vcc_lo
	.loc	1 58 21 is_stmt 1               ; attention_bwd.py:58:21 @[ attention_bwd.py:200:26 ]
	global_load_u16 v36, v[0:1], off
	s_and_b32 vcc_lo, exec_lo, s0
	s_wait_alu depctr_sa_sdst(0)
	s_cbranch_vccnz .LBB0_43
.LBB0_106:
	.loc	1 38 23                         ; attention_bwd.py:38:23 @[ attention_bwd.py:200:26 ]
	v_readlane_b32 s4, v250, 17
	s_or_b32 s4, s4, s69
	.loc	1 42 37                         ; attention_bwd.py:42:37 @[ attention_bwd.py:200:26 ]
	s_wait_alu depctr_sa_sdst(0)
	s_mul_i32 s60, s18, s4
	.loc	1 42 19 is_stmt 0               ; attention_bwd.py:42:19 @[ attention_bwd.py:200:26 ]
	s_wait_alu depctr_sa_sdst(0)
	s_ashr_i32 s61, s60, 31
	s_wait_alu depctr_sa_sdst(0)
	s_lshl_b64 s[60:61], s[60:61], 1
	s_wait_alu depctr_sa_sdst(0)
	s_add_nc_u64 s[60:61], s[6:7], s[60:61]
	.loc	1 42 50                         ; attention_bwd.py:42:50 @[ attention_bwd.py:200:26 ]
	s_wait_alu depctr_sa_sdst(0)
	v_add_co_u32 v0, vcc_lo, s60, v245
	s_wait_alu depctr_va_vcc(0)
	v_add_co_ci_u32_e64 v1, null, s61, v246, vcc_lo
	.loc	1 58 21 is_stmt 1               ; attention_bwd.py:58:21 @[ attention_bwd.py:200:26 ]
	global_load_u16 v23, v[0:1], off
	v_dual_mov_b32 v37, 0 :: v_dual_mov_b32 v38, 0
	s_and_b32 vcc_lo, exec_lo, s0
	s_wait_alu depctr_sa_sdst(0)
	s_cbranch_vccnz .LBB0_44
.LBB0_107:
	.loc	1 38 23                         ; attention_bwd.py:38:23 @[ attention_bwd.py:200:26 ]
	v_readlane_b32 s4, v250, 19
	s_or_b32 s4, s4, s69
	.loc	1 42 37                         ; attention_bwd.py:42:37 @[ attention_bwd.py:200:26 ]
	s_wait_alu depctr_sa_sdst(0)
	s_mul_i32 s56, s18, s4
	.loc	1 42 19 is_stmt 0               ; attention_bwd.py:42:19 @[ attention_bwd.py:200:26 ]
	s_wait_alu depctr_sa_sdst(0)
	s_ashr_i32 s57, s56, 31
	s_wait_alu depctr_sa_sdst(0)
	s_lshl_b64 s[56:57], s[56:57], 1
	s_wait_alu depctr_sa_sdst(0)
	s_add_nc_u64 s[56:57], s[6:7], s[56:57]
	.loc	1 42 50                         ; attention_bwd.py:42:50 @[ attention_bwd.py:200:26 ]
	s_wait_alu depctr_sa_sdst(0)
	v_add_co_u32 v0, vcc_lo, s56, v245
	s_wait_alu depctr_va_vcc(0)
	v_add_co_ci_u32_e64 v1, null, s57, v246, vcc_lo
	.loc	1 58 21 is_stmt 1               ; attention_bwd.py:58:21 @[ attention_bwd.py:200:26 ]
	global_load_u16 v38, v[0:1], off
	s_and_b32 vcc_lo, exec_lo, s0
	s_wait_alu depctr_sa_sdst(0)
	s_cbranch_vccnz .LBB0_45
.LBB0_108:
	.loc	1 38 23                         ; attention_bwd.py:38:23 @[ attention_bwd.py:200:26 ]
	v_readlane_b32 s4, v250, 21
	s_or_b32 s4, s4, s69
	.loc	1 42 37                         ; attention_bwd.py:42:37 @[ attention_bwd.py:200:26 ]
	s_wait_alu depctr_sa_sdst(0)
	s_mul_i32 s56, s18, s4
	.loc	1 42 19 is_stmt 0               ; attention_bwd.py:42:19 @[ attention_bwd.py:200:26 ]
	s_wait_alu depctr_sa_sdst(0)
	s_ashr_i32 s57, s56, 31
	s_wait_alu depctr_sa_sdst(0)
	s_lshl_b64 s[56:57], s[56:57], 1
	s_wait_alu depctr_sa_sdst(0)
	s_add_nc_u64 s[56:57], s[6:7], s[56:57]
	.loc	1 42 50                         ; attention_bwd.py:42:50 @[ attention_bwd.py:200:26 ]
	s_wait_alu depctr_sa_sdst(0)
	v_add_co_u32 v0, vcc_lo, s56, v245
	s_wait_alu depctr_va_vcc(0)
	v_add_co_ci_u32_e64 v1, null, s57, v246, vcc_lo
	.loc	1 58 21 is_stmt 1               ; attention_bwd.py:58:21 @[ attention_bwd.py:200:26 ]
	global_load_u16 v37, v[0:1], off
	v_dual_mov_b32 v164, 0 :: v_dual_mov_b32 v165, 0
	s_and_b32 vcc_lo, exec_lo, s0
	s_wait_alu depctr_sa_sdst(0)
	s_cbranch_vccnz .LBB0_46
.LBB0_109:
	.loc	1 38 23                         ; attention_bwd.py:38:23 @[ attention_bwd.py:200:26 ]
	v_readlane_b32 s4, v250, 23
	s_or_b32 s4, s4, s69
	.loc	1 42 37                         ; attention_bwd.py:42:37 @[ attention_bwd.py:200:26 ]
	s_wait_alu depctr_sa_sdst(0)
	s_mul_i32 s54, s18, s4
	.loc	1 42 19 is_stmt 0               ; attention_bwd.py:42:19 @[ attention_bwd.py:200:26 ]
	s_wait_alu depctr_sa_sdst(0)
	s_ashr_i32 s55, s54, 31
	s_wait_alu depctr_sa_sdst(0)
	s_lshl_b64 s[54:55], s[54:55], 1
	s_wait_alu depctr_sa_sdst(0)
	s_add_nc_u64 s[54:55], s[6:7], s[54:55]
	.loc	1 42 50                         ; attention_bwd.py:42:50 @[ attention_bwd.py:200:26 ]
	s_wait_alu depctr_sa_sdst(0)
	v_add_co_u32 v0, vcc_lo, s54, v245
	s_wait_alu depctr_va_vcc(0)
	v_add_co_ci_u32_e64 v1, null, s55, v246, vcc_lo
	.loc	1 58 21 is_stmt 1               ; attention_bwd.py:58:21 @[ attention_bwd.py:200:26 ]
	global_load_u16 v165, v[0:1], off
	s_and_b32 vcc_lo, exec_lo, s0
	s_wait_alu depctr_sa_sdst(0)
	s_cbranch_vccnz .LBB0_47
.LBB0_110:
	.loc	1 38 23                         ; attention_bwd.py:38:23 @[ attention_bwd.py:200:26 ]
	v_readlane_b32 s4, v250, 25
	s_or_b32 s4, s4, s69
	.loc	1 42 37                         ; attention_bwd.py:42:37 @[ attention_bwd.py:200:26 ]
	s_wait_alu depctr_sa_sdst(0)
	s_mul_i32 s54, s18, s4
	.loc	1 42 19 is_stmt 0               ; attention_bwd.py:42:19 @[ attention_bwd.py:200:26 ]
	s_wait_alu depctr_sa_sdst(0)
	s_ashr_i32 s55, s54, 31
	s_wait_alu depctr_sa_sdst(0)
	s_lshl_b64 s[54:55], s[54:55], 1
	s_wait_alu depctr_sa_sdst(0)
	s_add_nc_u64 s[54:55], s[6:7], s[54:55]
	.loc	1 42 50                         ; attention_bwd.py:42:50 @[ attention_bwd.py:200:26 ]
	s_wait_alu depctr_sa_sdst(0)
	v_add_co_u32 v0, vcc_lo, s54, v245
	s_wait_alu depctr_va_vcc(0)
	v_add_co_ci_u32_e64 v1, null, s55, v246, vcc_lo
	.loc	1 58 21 is_stmt 1               ; attention_bwd.py:58:21 @[ attention_bwd.py:200:26 ]
	global_load_u16 v164, v[0:1], off
	v_dual_mov_b32 v166, 0 :: v_dual_mov_b32 v167, 0
	s_and_b32 vcc_lo, exec_lo, s0
	s_wait_alu depctr_sa_sdst(0)
	s_cbranch_vccnz .LBB0_48
.LBB0_111:
	.loc	1 38 23                         ; attention_bwd.py:38:23 @[ attention_bwd.py:200:26 ]
	v_readlane_b32 s4, v250, 27
	s_or_b32 s4, s4, s69
	.loc	1 42 37                         ; attention_bwd.py:42:37 @[ attention_bwd.py:200:26 ]
	s_wait_alu depctr_sa_sdst(0)
	s_mul_i32 s54, s18, s4
	.loc	1 42 19 is_stmt 0               ; attention_bwd.py:42:19 @[ attention_bwd.py:200:26 ]
	s_wait_alu depctr_sa_sdst(0)
	s_ashr_i32 s55, s54, 31
	s_wait_alu depctr_sa_sdst(0)
	s_lshl_b64 s[54:55], s[54:55], 1
	s_wait_alu depctr_sa_sdst(0)
	s_add_nc_u64 s[54:55], s[6:7], s[54:55]
	.loc	1 42 50                         ; attention_bwd.py:42:50 @[ attention_bwd.py:200:26 ]
	s_wait_alu depctr_sa_sdst(0)
	v_add_co_u32 v0, vcc_lo, s54, v245
	s_wait_alu depctr_va_vcc(0)
	v_add_co_ci_u32_e64 v1, null, s55, v246, vcc_lo
	.loc	1 58 21 is_stmt 1               ; attention_bwd.py:58:21 @[ attention_bwd.py:200:26 ]
	global_load_u16 v167, v[0:1], off
	s_and_b32 vcc_lo, exec_lo, s0
	s_wait_alu depctr_sa_sdst(0)
	s_cbranch_vccz .LBB0_49
	s_branch .LBB0_50
.LBB0_112:
	.loc	1 51 20                         ; attention_bwd.py:51:20 @[ attention_bwd.py:200:26 ]
	global_load_b32 v160, v[132:133], off offset:4
	v_dual_mov_b32 v162, 0 :: v_dual_mov_b32 v161, 0
	s_and_b32 vcc_lo, exec_lo, s0
	s_wait_alu depctr_sa_sdst(0)
	s_cbranch_vccnz .LBB0_54
.LBB0_113:
	global_load_b32 v161, v[132:133], off offset:8
	s_and_b32 vcc_lo, exec_lo, s0
	s_wait_alu depctr_sa_sdst(0)
	s_cbranch_vccnz .LBB0_55
.LBB0_114:
	global_load_b32 v162, v[132:133], off offset:12
	v_dual_mov_b32 v212, 0 :: v_dual_mov_b32 v163, 0
	s_and_b32 vcc_lo, exec_lo, s0
	s_wait_alu depctr_sa_sdst(0)
	s_cbranch_vccnz .LBB0_56
.LBB0_115:
	global_load_b32 v163, v[132:133], off offset:16
	s_and_b32 vcc_lo, exec_lo, s0
	s_wait_alu depctr_sa_sdst(0)
	s_cbranch_vccnz .LBB0_57
.LBB0_116:
	global_load_b32 v212, v[132:133], off offset:20
	v_dual_mov_b32 v214, 0 :: v_dual_mov_b32 v213, 0
	s_and_b32 vcc_lo, exec_lo, s0
	s_wait_alu depctr_sa_sdst(0)
	s_cbranch_vccnz .LBB0_58
.LBB0_117:
	global_load_b32 v213, v[132:133], off offset:24
	s_and_b32 vcc_lo, exec_lo, s0
	s_wait_loadcnt 0x1
	scratch_store_b128 off, v[160:163], off offset:736 ; 16-byte Folded Spill
	s_wait_alu depctr_sa_sdst(0)
	s_cbranch_vccnz .LBB0_59
.LBB0_118:
	global_load_b32 v214, v[132:133], off offset:28
	v_dual_mov_b32 v161, 0 :: v_dual_mov_b32 v160, 0
	s_and_b32 vcc_lo, exec_lo, s0
	s_wait_alu depctr_sa_sdst(0)
	s_cbranch_vccnz .LBB0_60
.LBB0_119:
	global_load_b32 v160, v[132:133], off offset:64
	s_and_b32 vcc_lo, exec_lo, s0
	s_wait_alu depctr_sa_sdst(0)
	s_cbranch_vccnz .LBB0_61
.LBB0_120:
	global_load_b32 v161, v[132:133], off offset:68
	v_dual_mov_b32 v163, 0 :: v_dual_mov_b32 v162, 0
	s_and_b32 vcc_lo, exec_lo, s0
	s_wait_alu depctr_sa_sdst(0)
	s_cbranch_vccnz .LBB0_62
.LBB0_121:
	global_load_b32 v162, v[132:133], off offset:72
	s_and_b32 vcc_lo, exec_lo, s0
	s_wait_loadcnt 0x1
	scratch_store_b96 off, v[212:214], off offset:752 ; 12-byte Folded Spill
	s_wait_alu depctr_sa_sdst(0)
	s_cbranch_vccnz .LBB0_63
.LBB0_122:
	global_load_b32 v163, v[132:133], off offset:76
	v_dual_mov_b32 v220, 0 :: v_dual_mov_b32 v219, 0
	s_and_b32 vcc_lo, exec_lo, s0
	s_wait_alu depctr_sa_sdst(0)
	s_cbranch_vccnz .LBB0_64
.LBB0_123:
	global_load_b32 v219, v[132:133], off offset:80
	s_and_b32 vcc_lo, exec_lo, s0
	s_wait_alu depctr_sa_sdst(0)
	s_cbranch_vccnz .LBB0_65
.LBB0_124:
	global_load_b32 v220, v[132:133], off offset:84
	v_dual_mov_b32 v222, 0 :: v_dual_mov_b32 v221, 0
	s_and_b32 vcc_lo, exec_lo, s0
	s_wait_alu depctr_sa_sdst(0)
	s_cbranch_vccz .LBB0_66
	s_branch .LBB0_67
.LBB0_125:
	.loc	1 64 21                         ; attention_bwd.py:64:21 @[ attention_bwd.py:200:26 ]
	global_load_b32 v194, v[128:129], off offset:24
	s_and_b32 vcc_lo, exec_lo, s0
	s_wait_alu depctr_sa_sdst(0)
	s_cbranch_vccnz .LBB0_83
.LBB0_126:
	global_load_b32 v195, v[128:129], off offset:28
	v_dual_mov_b32 v4, 0 :: v_dual_mov_b32 v3, 0
	s_and_b32 vcc_lo, exec_lo, s0
	s_wait_alu depctr_sa_sdst(0)
	s_cbranch_vccnz .LBB0_84
.LBB0_127:
	global_load_b32 v3, v[128:129], off offset:64
	s_and_b32 vcc_lo, exec_lo, s0
	s_wait_alu depctr_sa_sdst(0)
	s_cbranch_vccnz .LBB0_85
.LBB0_128:
	global_load_b32 v4, v[128:129], off offset:68
	v_dual_mov_b32 v6, 0 :: v_dual_mov_b32 v5, 0
	s_and_b32 vcc_lo, exec_lo, s0
	s_wait_alu depctr_sa_sdst(0)
	s_cbranch_vccnz .LBB0_86
.LBB0_129:
	global_load_b32 v5, v[128:129], off offset:72
	s_and_b32 vcc_lo, exec_lo, s0
	s_wait_alu depctr_sa_sdst(0)
	s_cbranch_vccnz .LBB0_87
.LBB0_130:
	global_load_b32 v6, v[128:129], off offset:76
	v_dual_mov_b32 v8, 0 :: v_dual_mov_b32 v7, 0
	s_and_b32 vcc_lo, exec_lo, s0
	s_wait_alu depctr_sa_sdst(0)
	s_cbranch_vccnz .LBB0_88
.LBB0_131:
	global_load_b32 v7, v[128:129], off offset:80
	s_and_b32 vcc_lo, exec_lo, s0
	s_wait_alu depctr_sa_sdst(0)
	s_cbranch_vccnz .LBB0_89
.LBB0_132:
	global_load_b32 v8, v[128:129], off offset:84
	v_dual_mov_b32 v10, 0 :: v_dual_mov_b32 v9, 0
	s_and_b32 vcc_lo, exec_lo, s0
	s_wait_alu depctr_sa_sdst(0)
	s_cbranch_vccnz .LBB0_90
.LBB0_133:
	global_load_b32 v9, v[128:129], off offset:88
	s_and_b32 vcc_lo, exec_lo, s0
	s_wait_alu depctr_sa_sdst(0)
	s_cbranch_vccz .LBB0_91
	s_branch .LBB0_92
.LBB0_134:
	.loc	1 47 25                         ; attention_bwd.py:47:25 @[ attention_bwd.py:200:26 ]
	v_writelane_b32 v250, s48, 5
	v_mov_b32_e32 v196, v229
	v_writelane_b32 v250, s49, 6
.LBB0_135:                              ; %Flow1644
	.loc	1 0 25 is_stmt 0                ; attention_bwd.py:0:25
	s_clause 0x2                            ; 48-byte Folded Reload
	scratch_load_b128 v[32:35], off, off
	scratch_load_b128 v[36:39], off, off offset:16
	scratch_load_b128 v[40:43], off, off offset:32
	scratch_store_b128 off, v[3:6], off offset:260 ; 16-byte Folded Spill
	v_dual_mov_b32 v76, v10 :: v_dual_mov_b32 v75, v9
	v_dual_mov_b32 v24, v204 :: v_dual_mov_b32 v25, v205
	;; [unrolled: 1-line block ×6, first 2 shown]
	v_dual_mov_b32 v88, 0 :: v_dual_add_nc_u32 v229, v247, v228
	v_dual_mov_b32 v128, 0 :: v_dual_mov_b32 v129, 0
	v_dual_mov_b32 v130, 0 :: v_dual_mov_b32 v131, 0
	v_dual_mov_b32 v132, 0 :: v_dual_mov_b32 v133, 0
	v_dual_mov_b32 v134, 0 :: v_dual_mov_b32 v135, 0
	v_dual_mov_b32 v144, 0 :: v_dual_mov_b32 v145, 0
	v_dual_mov_b32 v146, 0 :: v_dual_mov_b32 v147, 0
	v_dual_mov_b32 v148, 0 :: v_dual_mov_b32 v149, 0
	v_dual_mov_b32 v150, 0 :: v_dual_mov_b32 v151, 0
	v_dual_mov_b32 v136, 0 :: v_dual_mov_b32 v137, 0
	v_dual_mov_b32 v138, 0 :: v_dual_mov_b32 v139, 0
	v_dual_mov_b32 v140, 0 :: v_dual_mov_b32 v141, 0
	v_dual_mov_b32 v142, 0 :: v_dual_mov_b32 v143, 0
	v_dual_mov_b32 v152, 0 :: v_dual_mov_b32 v153, 0
	v_dual_mov_b32 v154, 0 :: v_dual_mov_b32 v155, 0
	v_dual_mov_b32 v156, 0 :: v_dual_mov_b32 v157, 0
	v_dual_mov_b32 v158, 0 :: v_dual_mov_b32 v159, 0
	.loc	1 52 24 is_stmt 1               ; attention_bwd.py:52:24 @[ attention_bwd.py:200:26 ]
	s_and_b32 vcc_lo, exec_lo, s0
	.loc	1 69 26                         ; attention_bwd.py:69:26 @[ attention_bwd.py:200:26 ]
	s_wait_storecnt 0x0
	s_wait_loadcnt_dscnt 0x0
	s_barrier_signal -1
	s_barrier_wait -1
	global_inv scope:SCOPE_SE
	s_wait_alu depctr_sa_sdst(0)
	s_cbranch_vccnz .LBB0_137
; %bb.136:
	.loc	1 0 26 is_stmt 0                ; attention_bwd.py:0:26
	scratch_load_b128 v[19:22], off, off offset:240 th:TH_LOAD_LU ; 16-byte Folded Reload
	.loc	1 48 21 is_stmt 1               ; attention_bwd.py:48:21 @[ attention_bwd.py:200:26 ]
	ds_load_u16 v3, v229 offset:416
	ds_load_u16 v4, v229 offset:1024
	;; [unrolled: 1-line block ×5, first 2 shown]
	s_wait_dscnt 0x4
	ds_load_u16_d16_hi v3, v229 offset:480
	s_wait_dscnt 0x4
	ds_load_u16_d16_hi v4, v229 offset:1088
	ds_load_u16 v10, v229 offset:256
	ds_load_u16 v9, v229 offset:128
	;; [unrolled: 1-line block ×3, first 2 shown]
	ds_load_u16 v8, v229
	ds_load_u16 v6, v229 offset:1280
	ds_load_u16 v12, v229 offset:2048
	;; [unrolled: 1-line block ×8, first 2 shown]
	s_wait_dscnt 0x10
	ds_load_u16_d16_hi v5, v229 offset:1216
	s_wait_dscnt 0xf
	ds_load_u16_d16_hi v11, v229 offset:448
	;; [unrolled: 2-line block ×6, first 2 shown]
	ds_load_u16 v13, v229 offset:2176
	s_wait_dscnt 0xe
	ds_load_u16_d16_hi v6, v229 offset:1344
	ds_load_u16 v18, v229 offset:2080
	s_wait_dscnt 0xf
	ds_load_u16_d16_hi v12, v229 offset:2112
	s_wait_dscnt 0xf
	ds_load_u16_d16_hi v7, v229 offset:1472
	ds_load_u16_d16_hi v2, v229 offset:352
	s_wait_dscnt 0x10
	ds_load_u16_d16_hi v1, v229 offset:224
	s_wait_dscnt 0x10
	ds_load_u16_d16_hi v15, v229 offset:1248
	s_wait_dscnt 0x10
	ds_load_u16_d16_hi v14, v229 offset:1120
	s_wait_dscnt 0x10
	ds_load_u16_d16_hi v17, v229 offset:1504
	s_wait_dscnt 0x10
	ds_load_u16_d16_hi v16, v229 offset:1376
	.loc	1 52 24                         ; attention_bwd.py:52:24 @[ attention_bwd.py:200:26 ]
	s_wait_dscnt 0xb
	v_wmma_f32_16x16x16_f16 v[136:143], v[8:11], v[32:35], 0
	s_wait_dscnt 0x6
	s_delay_alu instid0(VALU_DEP_1) | instskip(SKIP_3) | instid1(VALU_DEP_1)
	v_wmma_f32_16x16x16_f16 v[136:143], v[4:7], v[40:43], v[136:143]
	s_wait_dscnt 0x4
	v_wmma_f32_16x16x16_f16 v[152:159], v[0:3], v[32:35], 0
	s_wait_dscnt 0x0
	v_wmma_f32_16x16x16_f16 v[152:159], v[14:17], v[40:43], v[152:159]
	s_wait_loadcnt 0x0
	v_wmma_f32_16x16x16_f16 v[128:135], v[8:11], v[19:22], 0
	scratch_load_b128 v[8:11], off, off offset:224 th:TH_LOAD_LU ; 16-byte Folded Reload
	v_wmma_f32_16x16x16_f16 v[144:151], v[0:3], v[19:22], 0
	v_wmma_f32_16x16x16_f16 v[128:135], v[4:7], v[36:39], v[128:135]
	s_delay_alu instid0(VALU_DEP_2)
	v_wmma_f32_16x16x16_f16 v[144:151], v[14:17], v[36:39], v[144:151]
	.loc	1 48 21                         ; attention_bwd.py:48:21 @[ attention_bwd.py:200:26 ]
	ds_load_u16 v3, v229 offset:3488
	ds_load_u16 v15, v229 offset:2432
	;; [unrolled: 1-line block ×11, first 2 shown]
	s_wait_dscnt 0xa
	ds_load_u16_d16_hi v3, v229 offset:3552
	ds_load_u16 v6, v229 offset:3328
	ds_load_u16 v1, v229 offset:3232
	s_wait_dscnt 0xc
	ds_load_u16_d16_hi v15, v229 offset:2496
	s_wait_dscnt 0xc
	ds_load_u16_d16_hi v20, v229 offset:2400
	;; [unrolled: 2-line block ×4, first 2 shown]
	ds_load_u16_d16_hi v13, v229 offset:2240
	ds_load_u16_d16_hi v18, v229 offset:2144
	s_wait_dscnt 0xd
	ds_load_u16_d16_hi v21, v229 offset:2528
	s_wait_dscnt 0xd
	;; [unrolled: 2-line block ×4, first 2 shown]
	ds_load_u16_d16_hi v0, v229 offset:3168
	ds_load_u16_d16_hi v2, v229 offset:3424
	s_wait_dscnt 0xe
	ds_load_u16_d16_hi v7, v229 offset:3520
	s_wait_dscnt 0xd
	;; [unrolled: 2-line block ×3, first 2 shown]
	ds_load_u16_d16_hi v1, v229 offset:3296
	.loc	1 52 24                         ; attention_bwd.py:52:24 @[ attention_bwd.py:200:26 ]
	s_wait_loadcnt_dscnt 0x9
	v_wmma_f32_16x16x16_f16 v[128:135], v[12:15], v[8:11], v[128:135]
	s_wait_dscnt 0x7
	v_wmma_f32_16x16x16_f16 v[144:151], v[18:21], v[8:11], v[144:151]
	scratch_load_b128 v[8:11], off, off offset:208 th:TH_LOAD_LU ; 16-byte Folded Reload
	s_wait_loadcnt 0x0
	v_wmma_f32_16x16x16_f16 v[136:143], v[12:15], v[8:11], v[136:143]
	v_wmma_f32_16x16x16_f16 v[152:159], v[18:21], v[8:11], v[152:159]
	scratch_load_b128 v[8:11], off, off offset:192 th:TH_LOAD_LU ; 16-byte Folded Reload
	s_wait_loadcnt_dscnt 0x1
	v_wmma_f32_16x16x16_f16 v[128:135], v[4:7], v[8:11], v[128:135]
	s_wait_dscnt 0x0
	v_wmma_f32_16x16x16_f16 v[144:151], v[0:3], v[8:11], v[144:151]
	scratch_load_b128 v[8:11], off, off offset:176 th:TH_LOAD_LU ; 16-byte Folded Reload
	s_wait_loadcnt 0x0
	v_wmma_f32_16x16x16_f16 v[136:143], v[4:7], v[8:11], v[136:143]
	v_wmma_f32_16x16x16_f16 v[152:159], v[0:3], v[8:11], v[152:159]
.LBB0_137:
	.loc	1 0 24 is_stmt 0                ; attention_bwd.py:0:24
	s_clause 0x1                            ; 28-byte Folded Reload
	scratch_load_b128 v[32:35], off, off offset:736 th:TH_LOAD_LU
	scratch_load_b96 v[36:38], off, off offset:752 th:TH_LOAD_LU
	.loc	1 53 32 is_stmt 1               ; attention_bwd.py:53:32 @[ attention_bwd.py:200:26 ]
	v_sub_f32_e32 v16, v128, v172
	v_dual_sub_f32 v0, v144, v160 :: v_dual_sub_f32 v1, v145, v161
	v_dual_sub_f32 v2, v146, v162 :: v_dual_sub_f32 v3, v147, v163
	;; [unrolled: 1-line block ×8, first 2 shown]
	.loc	1 53 26 is_stmt 0               ; attention_bwd.py:53:26 @[ attention_bwd.py:200:26 ]
	v_exp_f32_e32 v121, v0
	v_exp_f32_e32 v120, v1
	;; [unrolled: 1-line block ×16, first 2 shown]
	s_clause 0x5                            ; 96-byte Folded Reload
	scratch_load_b128 v[0:3], off, off offset:384
	scratch_load_b128 v[4:7], off, off offset:400
	;; [unrolled: 1-line block ×6, first 2 shown]
	v_dual_mov_b32 v40, v80 :: v_dual_mov_b32 v45, v85
	.loc	1 0 0                           ; attention_bwd.py:0 @[ attention_bwd.py:200:26 ]
	v_add_nc_u32_e32 v232, v203, v225
	v_dual_mov_b32 v42, v82 :: v_dual_mov_b32 v47, v87
	v_mov_b32_e32 v44, v84
	v_mov_b32_e32 v46, v86
	v_dual_mov_b32 v144, v104 :: v_dual_mov_b32 v147, v107
	v_dual_mov_b32 v146, v106 :: v_dual_mov_b32 v149, v109
	v_mov_b32_e32 v148, v108
	v_mov_b32_e32 v150, v110
	v_dual_mov_b32 v90, 0 :: v_dual_mov_b32 v91, 0
	v_dual_mov_b32 v92, 0 :: v_dual_mov_b32 v93, 0
	v_dual_mov_b32 v94, 0 :: v_dual_mov_b32 v95, 0
	v_dual_mov_b32 v200, 0 :: v_dual_mov_b32 v201, 0
	v_dual_mov_b32 v202, 0 :: v_dual_mov_b32 v203, 0
	v_dual_mov_b32 v204, 0 :: v_dual_mov_b32 v205, 0
	v_dual_mov_b32 v206, 0 :: v_dual_mov_b32 v207, 0
	v_dual_mov_b32 v208, 0 :: v_dual_mov_b32 v209, 0
	v_dual_mov_b32 v210, 0 :: v_dual_mov_b32 v211, 0
	v_dual_mov_b32 v212, 0 :: v_dual_mov_b32 v213, 0
	v_dual_mov_b32 v214, 0 :: v_dual_mov_b32 v215, 0
	v_dual_mov_b32 v216, 0 :: v_dual_mov_b32 v217, 0
	v_dual_mov_b32 v218, 0 :: v_dual_mov_b32 v219, 0
	v_dual_mov_b32 v220, 0 :: v_dual_mov_b32 v221, 0
	v_dual_mov_b32 v222, 0 :: v_dual_mov_b32 v223, 0
	.loc	1 66 24 is_stmt 1               ; attention_bwd.py:66:24 @[ attention_bwd.py:200:26 ]
	s_and_b32 vcc_lo, exec_lo, s0
	v_mov_b32_e32 v145, v105
	v_mov_b32_e32 v151, v111
	;; [unrolled: 1-line block ×4, first 2 shown]
	v_dual_mov_b32 v183, v119 :: v_dual_mov_b32 v182, v118
	v_dual_mov_b32 v181, v117 :: v_dual_mov_b32 v180, v116
	;; [unrolled: 1-line block ×4, first 2 shown]
	v_mov_b32_e32 v89, 0
	.loc	1 53 32                         ; attention_bwd.py:53:32 @[ attention_bwd.py:200:26 ]
	s_wait_loadcnt 0x7
	v_dual_sub_f32 v17, v129, v32 :: v_dual_sub_f32 v18, v130, v33
	v_dual_sub_f32 v19, v131, v34 :: v_dual_sub_f32 v20, v132, v35
	s_wait_loadcnt 0x6
	v_dual_sub_f32 v21, v133, v36 :: v_dual_sub_f32 v22, v134, v37
	v_sub_f32_e32 v23, v135, v38
	.loc	1 53 26 is_stmt 0               ; attention_bwd.py:53:26 @[ attention_bwd.py:200:26 ]
	v_exp_f32_e32 v53, v16
	v_exp_f32_e32 v52, v17
	;; [unrolled: 1-line block ×8, first 2 shown]
	s_clause 0x1                            ; 32-byte Folded Reload
	scratch_load_b128 v[16:19], off, off offset:480
	scratch_load_b128 v[20:23], off, off offset:496
	.loc	1 53 32                         ; attention_bwd.py:53:32 @[ attention_bwd.py:200:26 ]
	v_dual_sub_f32 v128, v137, v32 :: v_dual_sub_f32 v129, v138, v33
	v_dual_sub_f32 v130, v139, v34 :: v_dual_sub_f32 v131, v140, v35
	v_dual_sub_f32 v132, v141, v36 :: v_dual_sub_f32 v133, v142, v37
	v_dual_sub_f32 v134, v143, v38 :: v_dual_sub_f32 v135, v136, v172
	s_delay_alu instid0(VALU_DEP_4)
	.loc	1 53 26                         ; attention_bwd.py:53:26 @[ attention_bwd.py:200:26 ]
	v_exp_f32_e32 v235, v128
	v_exp_f32_e32 v239, v129
	;; [unrolled: 1-line block ×8, first 2 shown]
	v_dual_mov_b32 v32, v104 :: v_dual_mov_b32 v37, v109
	v_dual_mov_b32 v128, v80 :: v_dual_mov_b32 v131, v83
	;; [unrolled: 1-line block ×10, first 2 shown]
	v_mov_b32_e32 v39, v111
	v_dual_mov_b32 v35, v107 :: v_dual_mov_b32 v36, v108
	s_wait_loadcnt 0x7
	v_dual_mov_b32 v38, v110 :: v_dual_mov_b32 v153, v1
	v_dual_mov_b32 v152, v0 :: v_dual_mov_b32 v155, v3
	s_wait_loadcnt 0x6
	v_dual_mov_b32 v154, v2 :: v_dual_mov_b32 v157, v5
	;; [unrolled: 3-line block ×5, first 2 shown]
	s_wait_loadcnt 0x0
	v_mov_b32_e32 v174, v22
	v_dual_mov_b32 v168, v16 :: v_dual_mov_b32 v171, v19
	v_dual_mov_b32 v170, v18 :: v_dual_mov_b32 v173, v21
	;; [unrolled: 1-line block ×3, first 2 shown]
	s_wait_alu depctr_sa_sdst(0)
	s_cbranch_vccnz .LBB0_139
; %bb.138:
	.loc	1 0 26                          ; attention_bwd.py:0:26
	v_dual_mov_b32 v72, v196 :: v_dual_mov_b32 v21, v54
	v_mov_b32_e32 v18, v52
	v_dual_mov_b32 v20, v53 :: v_dual_mov_b32 v17, v59
	v_mov_b32_e32 v22, v55
	s_clause 0x1                            ; 32-byte Folded Reload
	scratch_load_b128 v[52:55], off, off offset:128 th:TH_LOAD_LU
	scratch_load_b128 v[48:51], off, off offset:112 th:TH_LOAD_LU
	.loc	1 66 24 is_stmt 1               ; attention_bwd.py:66:24 @[ attention_bwd.py:200:26 ]
	ds_load_b128 v[0:3], v196 offset:6144
	ds_load_b128 v[4:7], v196 offset:6176
	ds_load_b128 v[8:11], v196 offset:6208
	ds_load_b128 v[12:15], v196 offset:4192
	scratch_load_b128 v[60:63], off, off offset:160 th:TH_LOAD_LU ; 16-byte Folded Reload
	v_mov_b32_e32 v16, v58
	.loc	1 62 26                         ; attention_bwd.py:62:26 @[ attention_bwd.py:200:26 ]
	s_clause 0x1                            ; 32-byte Folded Reload
	scratch_load_b128 v[152:155], off, off offset:384
	scratch_load_b128 v[156:159], off, off offset:400
	.loc	1 58 21                         ; attention_bwd.py:58:21 @[ attention_bwd.py:200:26 ]
	ds_load_u16 v242, v231 offset:4704
	ds_load_u16 v241, v231 offset:4448
	;; [unrolled: 1-line block ×8, first 2 shown]
	s_wait_dscnt 0x6
	ds_load_u16_d16_hi v241, v231 offset:4576
	ds_load_u16 v240, v231 offset:4192
	ds_load_u16 v187, v231 offset:4928
	;; [unrolled: 1-line block ×7, first 2 shown]
	s_wait_dscnt 0xc
	ds_load_u16_d16_hi v168, v231 offset:4224
	ds_load_u16_d16_hi v170, v231 offset:4736
	s_wait_dscnt 0xc
	ds_load_u16_d16_hi v169, v231 offset:4480
	s_wait_dscnt 0xc
	ds_load_u16_d16_hi v186, v231 offset:4800
	ds_load_u16_d16_hi v171, v231 offset:4992
	ds_load_u16 v243, v231 offset:4960
	.loc	1 62 26                         ; attention_bwd.py:62:26 @[ attention_bwd.py:200:26 ]
	v_dual_mov_b32 v143, v103 :: v_dual_mov_b32 v140, v100
	v_dual_mov_b32 v151, v39 :: v_dual_mov_b32 v142, v102
	v_mov_b32_e32 v137, v97
	v_mov_b32_e32 v141, v101
	v_dual_mov_b32 v139, v99 :: v_dual_mov_b32 v138, v98
	v_dual_mov_b32 v149, v37 :: v_dual_mov_b32 v136, v96
	;; [unrolled: 1-line block ×4, first 2 shown]
	v_mov_b32_e32 v146, v34
	v_mov_b32_e32 v144, v32
	.loc	1 66 24                         ; attention_bwd.py:66:24 @[ attention_bwd.py:200:26 ]
	s_wait_loadcnt 0x4
	v_wmma_f32_16x16x16_f16 v[200:207], v[0:3], v[52:55], 0
	s_wait_loadcnt 0x3
	v_wmma_f32_16x16x16_f16 v[216:223], v[0:3], v[48:51], 0
	v_dual_mov_b32 v0, v56 :: v_dual_mov_b32 v1, v57
	scratch_load_b128 v[56:59], off, off offset:144 th:TH_LOAD_LU ; 16-byte Folded Reload
	.loc	1 58 21                         ; attention_bwd.py:58:21 @[ attention_bwd.py:200:26 ]
	ds_load_u16 v2, v231 offset:6720
	ds_load_u16 v3, v231 offset:6976
	.loc	1 66 24                         ; attention_bwd.py:66:24 @[ attention_bwd.py:200:26 ]
	s_wait_loadcnt 0x3
	v_wmma_f32_16x16x16_f16 v[200:207], v[4:7], v[60:63], v[200:207]
	s_wait_loadcnt 0x0
	v_wmma_f32_16x16x16_f16 v[216:223], v[4:7], v[56:59], v[216:223]
	.loc	1 58 21                         ; attention_bwd.py:58:21 @[ attention_bwd.py:200:26 ]
	s_wait_dscnt 0x1
	ds_load_u16_d16_hi v2, v231 offset:6848
	ds_load_u16 v7, v231 offset:6912
	s_wait_dscnt 0x0
	ds_load_u16_d16_hi v7, v231 offset:7040
	ds_load_u16_d16_hi v3, v231 offset:7104
	ds_load_u16 v19, v231 offset:7008
	ds_load_u16 v23, v231 offset:6944
	s_wait_dscnt 0x1
	ds_load_u16_d16_hi v19, v231 offset:7136
	.loc	1 66 24                         ; attention_bwd.py:66:24 @[ attention_bwd.py:200:26 ]
	ds_load_b128 v[128:131], v196 offset:4096
	ds_load_b128 v[132:135], v196 offset:4128
	.loc	1 61 21                         ; attention_bwd.py:61:21 @[ attention_bwd.py:200:26 ]
	v_cvt_f16_f32_e64 v4, v238
	v_cvt_f16_f32_e64 v5, v192
	.loc	1 66 24                         ; attention_bwd.py:66:24 @[ attention_bwd.py:200:26 ]
	ds_load_b128 v[196:199], v196 offset:4160
	.loc	1 62 26                         ; attention_bwd.py:62:26 @[ attention_bwd.py:200:26 ]
	v_pack_b32_f16 v162, v5, v4
	.loc	1 66 24                         ; attention_bwd.py:66:24 @[ attention_bwd.py:200:26 ]
	s_wait_dscnt 0x2
	v_wmma_f32_16x16x16_f16 v[208:215], v[128:131], v[48:51], 0
	v_wmma_f32_16x16x16_f16 v[88:95], v[128:131], v[52:55], 0
	v_dual_mov_b32 v54, v21 :: v_dual_mov_b32 v53, v20
	v_mov_b32_e32 v55, v22
	s_wait_dscnt 0x1
	v_wmma_f32_16x16x16_f16 v[208:215], v[132:135], v[56:59], v[208:215]
	v_dual_mov_b32 v57, v1 :: v_dual_mov_b32 v56, v0
	.loc	1 61 21                         ; attention_bwd.py:61:21 @[ attention_bwd.py:200:26 ]
	v_cvt_f16_f32_e64 v0, v233
	v_cvt_f16_f32_e64 v1, v228
	v_mov_b32_e32 v52, v18
	.loc	1 66 24                         ; attention_bwd.py:66:24 @[ attention_bwd.py:200:26 ]
	v_wmma_f32_16x16x16_f16 v[88:95], v[132:135], v[60:63], v[88:95]
	.loc	1 62 26                         ; attention_bwd.py:62:26 @[ attention_bwd.py:200:26 ]
	v_mov_b32_e32 v135, v47
	v_mov_b32_e32 v59, v17
	v_pack_b32_f16 v163, v1, v0
	.loc	1 61 21                         ; attention_bwd.py:61:21 @[ attention_bwd.py:200:26 ]
	v_cvt_f16_f32_e32 v0, v54
	v_cvt_f16_f32_e32 v1, v55
	v_dual_mov_b32 v58, v16 :: v_dual_mov_b32 v133, v45
	.loc	1 62 26                         ; attention_bwd.py:62:26 @[ attention_bwd.py:200:26 ]
	v_mov_b32_e32 v132, v44
	v_dual_mov_b32 v134, v46 :: v_dual_mov_b32 v129, v41
	s_delay_alu instid0(VALU_DEP_4)
	v_pack_b32_f16 v161, v1, v0
	.loc	1 61 21                         ; attention_bwd.py:61:21 @[ attention_bwd.py:200:26 ]
	v_cvt_f16_f32_e32 v0, v52
	v_cvt_f16_f32_e32 v1, v53
	.loc	1 62 26                         ; attention_bwd.py:62:26 @[ attention_bwd.py:200:26 ]
	v_dual_mov_b32 v131, v43 :: v_dual_mov_b32 v130, v42
	v_mov_b32_e32 v128, v40
	scratch_load_b128 v[48:51], off, off offset:96 th:TH_LOAD_LU ; 16-byte Folded Reload
	v_pack_b32_f16 v160, v1, v0
	.loc	1 58 21                         ; attention_bwd.py:58:21 @[ attention_bwd.py:200:26 ]
	ds_load_u16_d16_hi v240, v231 offset:4320
	ds_load_u16 v4, v231 offset:6144
	ds_load_u16 v0, v231 offset:6208
	ds_load_u16_d16_hi v177, v231 offset:4512
	ds_load_u16_d16_hi v185, v231 offset:4544
	ds_load_u16_d16_hi v187, v231 offset:5056
	ds_load_u16_d16_hi v178, v231 offset:4768
	ds_load_u16_d16_hi v242, v231 offset:4832
	ds_load_u16_d16_hi v179, v231 offset:5024
	ds_load_u16_d16_hi v176, v231 offset:4256
	ds_load_u16_d16_hi v184, v231 offset:4288
	ds_load_u16_d16_hi v243, v231 offset:5088
	ds_load_u16 v20, v231 offset:6176
	ds_load_u16 v1, v231 offset:6464
	;; [unrolled: 1-line block ×3, first 2 shown]
	s_wait_dscnt 0xd
	ds_load_u16_d16_hi v4, v231 offset:6272
	s_wait_dscnt 0xd
	ds_load_u16_d16_hi v0, v231 offset:6336
	.loc	1 62 26                         ; attention_bwd.py:62:26 @[ attention_bwd.py:200:26 ]
	v_wmma_f32_16x16x16_f16 v[128:135], v[168:171], v[160:163], v[128:135]
	.loc	1 61 21                         ; attention_bwd.py:61:21 @[ attention_bwd.py:200:26 ]
	v_cvt_f16_f32_e32 v5, v58
	v_cvt_f16_f32_e32 v6, v59
	;; [unrolled: 1-line block ×4, first 2 shown]
	.loc	1 62 26                         ; attention_bwd.py:62:26 @[ attention_bwd.py:200:26 ]
	s_wait_dscnt 0x7
	v_wmma_f32_16x16x16_f16 v[136:143], v[176:179], v[160:163], v[136:143]
	s_wait_dscnt 0x6
	v_wmma_f32_16x16x16_f16 v[144:151], v[184:187], v[160:163], v[144:151]
	v_pack_b32_f16 v227, v6, v5
	.loc	1 61 21                         ; attention_bwd.py:61:21 @[ attention_bwd.py:200:26 ]
	v_cvt_f16_f32_e64 v5, v237
	v_cvt_f16_f32_e64 v6, v239
	.loc	1 62 26                         ; attention_bwd.py:62:26 @[ attention_bwd.py:200:26 ]
	v_pack_b32_f16 v226, v18, v17
	s_wait_dscnt 0x5
	v_wmma_f32_16x16x16_f16 v[152:159], v[240:243], v[160:163], v[152:159]
	s_clause 0x1                            ; 32-byte Folded Reload
	scratch_load_b128 v[160:163], off, off offset:416
	scratch_load_b128 v[164:167], off, off offset:432
	v_pack_b32_f16 v225, v6, v5
	.loc	1 61 21                         ; attention_bwd.py:61:21 @[ attention_bwd.py:200:26 ]
	v_cvt_f16_f32_e64 v5, v235
	v_cvt_f16_f32_e64 v6, v236
	s_delay_alu instid0(VALU_DEP_1)
	.loc	1 62 26                         ; attention_bwd.py:62:26 @[ attention_bwd.py:200:26 ]
	v_pack_b32_f16 v224, v6, v5
	.loc	1 61 21                         ; attention_bwd.py:61:21 @[ attention_bwd.py:200:26 ]
	v_cvt_f16_f32_e32 v5, v65
	v_cvt_f16_f32_e32 v6, v68
	.loc	1 66 24                         ; attention_bwd.py:66:24 @[ attention_bwd.py:200:26 ]
	s_wait_loadcnt 0x2
	v_wmma_f32_16x16x16_f16 v[88:95], v[196:199], v[48:51], v[88:95]
	v_wmma_f32_16x16x16_f16 v[200:207], v[8:11], v[48:51], v[200:207]
	scratch_load_b128 v[48:51], off, off offset:80 th:TH_LOAD_LU ; 16-byte Folded Reload
	.loc	1 62 26                         ; attention_bwd.py:62:26 @[ attention_bwd.py:200:26 ]
	s_wait_loadcnt 0x1
	v_wmma_f32_16x16x16_f16 v[160:167], v[168:171], v[224:227], v[160:167]
	s_clause 0x1                            ; 32-byte Folded Reload
	scratch_load_b128 v[168:171], off, off offset:480
	scratch_load_b128 v[172:175], off, off offset:496
	.loc	1 66 24                         ; attention_bwd.py:66:24 @[ attention_bwd.py:200:26 ]
	s_wait_loadcnt 0x2
	v_wmma_f32_16x16x16_f16 v[216:223], v[8:11], v[48:51], v[216:223]
	.loc	1 61 21                         ; attention_bwd.py:61:21 @[ attention_bwd.py:200:26 ]
	v_cvt_f16_f32_e32 v8, v125
	v_cvt_f16_f32_e32 v9, v64
	.loc	1 62 26                         ; attention_bwd.py:62:26 @[ attention_bwd.py:200:26 ]
	v_pack_b32_f16 v11, v6, v5
	.loc	1 61 21                         ; attention_bwd.py:61:21 @[ attention_bwd.py:200:26 ]
	v_cvt_f16_f32_e32 v5, v122
	v_cvt_f16_f32_e32 v6, v124
	.loc	1 66 24                         ; attention_bwd.py:66:24 @[ attention_bwd.py:200:26 ]
	v_wmma_f32_16x16x16_f16 v[208:215], v[196:199], v[48:51], v[208:215]
	.loc	1 62 26                         ; attention_bwd.py:62:26 @[ attention_bwd.py:200:26 ]
	v_pack_b32_f16 v10, v9, v8
	.loc	1 61 21                         ; attention_bwd.py:61:21 @[ attention_bwd.py:200:26 ]
	v_cvt_f16_f32_e64 v196, v69
	s_delay_alu instid0(VALU_DEP_4) | instskip(SKIP_2) | instid1(VALU_DEP_1)
	.loc	1 62 26                         ; attention_bwd.py:62:26 @[ attention_bwd.py:200:26 ]
	v_pack_b32_f16 v9, v6, v5
	.loc	1 61 21                         ; attention_bwd.py:61:21 @[ attention_bwd.py:200:26 ]
	v_cvt_f16_f32_e32 v5, v120
	v_cvt_f16_f32_e32 v6, v121
	.loc	1 62 26                         ; attention_bwd.py:62:26 @[ attention_bwd.py:200:26 ]
	v_pack_b32_f16 v8, v6, v5
	.loc	1 58 21                         ; attention_bwd.py:58:21 @[ attention_bwd.py:200:26 ]
	ds_load_u16 v6, v231 offset:6656
	ds_load_u16 v5, v231 offset:6400
	;; [unrolled: 1-line block ×4, first 2 shown]
	s_wait_dscnt 0x7
	ds_load_u16_d16_hi v1, v231 offset:6592
	s_wait_dscnt 0x4
	ds_load_u16_d16_hi v6, v231 offset:6784
	ds_load_u16 v22, v231 offset:6688
	s_wait_dscnt 0x5
	ds_load_u16_d16_hi v5, v231 offset:6528
	ds_load_u16 v21, v231 offset:6432
	s_wait_dscnt 0x6
	ds_load_u16_d16_hi v18, v231 offset:6880
	ds_load_u16_d16_hi v23, v231 offset:7072
	s_wait_dscnt 0x7
	ds_load_u16_d16_hi v17, v231 offset:6624
	.loc	1 62 26                         ; attention_bwd.py:62:26 @[ attention_bwd.py:200:26 ]
	s_wait_loadcnt 0x0
	v_wmma_f32_16x16x16_f16 v[168:175], v[176:179], v[224:227], v[168:175]
	v_dual_mov_b32 v183, v119 :: v_dual_mov_b32 v182, v118
	v_mov_b32_e32 v177, v113
	v_dual_mov_b32 v181, v117 :: v_dual_mov_b32 v180, v116
	v_dual_mov_b32 v179, v115 :: v_dual_mov_b32 v178, v114
	v_mov_b32_e32 v176, v112
	.loc	1 58 21                         ; attention_bwd.py:58:21 @[ attention_bwd.py:200:26 ]
	s_wait_dscnt 0x5
	ds_load_u16_d16_hi v22, v231 offset:6816
	ds_load_u16_d16_hi v20, v231 offset:6304
	;; [unrolled: 1-line block ×3, first 2 shown]
	s_wait_dscnt 0x6
	ds_load_u16_d16_hi v21, v231 offset:6560
	.loc	1 62 26                         ; attention_bwd.py:62:26 @[ attention_bwd.py:200:26 ]
	v_wmma_f32_16x16x16_f16 v[176:183], v[184:187], v[224:227], v[176:183]
	s_clause 0x1                            ; 32-byte Folded Reload
	scratch_load_b128 v[184:187], off, off offset:448
	scratch_load_b128 v[188:191], off, off offset:464
	v_wmma_f32_16x16x16_f16 v[128:135], v[4:7], v[8:11], v[128:135]
	v_wmma_f32_16x16x16_f16 v[144:151], v[0:3], v[8:11], v[144:151]
	s_wait_dscnt 0x1
	v_wmma_f32_16x16x16_f16 v[152:159], v[16:19], v[8:11], v[152:159]
	s_wait_dscnt 0x0
	v_wmma_f32_16x16x16_f16 v[136:143], v[20:23], v[8:11], v[136:143]
	.loc	1 61 21                         ; attention_bwd.py:61:21 @[ attention_bwd.py:200:26 ]
	v_cvt_f16_f32_e32 v8, v70
	v_cvt_f16_f32_e32 v9, v71
	;; [unrolled: 1-line block ×3, first 2 shown]
	s_delay_alu instid0(VALU_DEP_2) | instskip(SKIP_2) | instid1(VALU_DEP_4)
	.loc	1 62 26                         ; attention_bwd.py:62:26 @[ attention_bwd.py:200:26 ]
	v_pack_b32_f16 v11, v9, v8
	.loc	1 61 21                         ; attention_bwd.py:61:21 @[ attention_bwd.py:200:26 ]
	v_cvt_f16_f32_e32 v8, v127
	v_cvt_f16_f32_e32 v9, v66
	.loc	1 62 26                         ; attention_bwd.py:62:26 @[ attention_bwd.py:200:26 ]
	v_pack_b32_f16 v10, v196, v10
	.loc	1 61 21                         ; attention_bwd.py:61:21 @[ attention_bwd.py:200:26 ]
	v_cvt_f16_f32_e64 v196, v126
	s_delay_alu instid0(VALU_DEP_3) | instskip(SKIP_1) | instid1(VALU_DEP_1)
	.loc	1 62 26                         ; attention_bwd.py:62:26 @[ attention_bwd.py:200:26 ]
	v_pack_b32_f16 v9, v9, v8
	.loc	1 61 21                         ; attention_bwd.py:61:21 @[ attention_bwd.py:200:26 ]
	v_cvt_f16_f32_e32 v8, v123
	.loc	1 62 26                         ; attention_bwd.py:62:26 @[ attention_bwd.py:200:26 ]
	v_pack_b32_f16 v8, v196, v8
	s_delay_alu instid0(VALU_DEP_1)
	v_wmma_f32_16x16x16_f16 v[160:167], v[4:7], v[8:11], v[160:167]
	v_wmma_f32_16x16x16_f16 v[168:175], v[20:23], v[8:11], v[168:175]
	;; [unrolled: 1-line block ×3, first 2 shown]
	.loc	1 66 24                         ; attention_bwd.py:66:24 @[ attention_bwd.py:200:26 ]
	ds_load_b128 v[0:3], v72 offset:6240
	.loc	1 62 26                         ; attention_bwd.py:62:26 @[ attention_bwd.py:200:26 ]
	s_wait_loadcnt 0x0
	v_wmma_f32_16x16x16_f16 v[184:191], v[240:243], v[224:227], v[184:191]
	s_delay_alu instid0(VALU_DEP_1)
	v_wmma_f32_16x16x16_f16 v[184:191], v[16:19], v[8:11], v[184:191]
	s_clause 0x2                            ; 48-byte Folded Reload
	scratch_load_b128 v[16:19], off, off offset:480
	scratch_load_b128 v[20:23], off, off offset:496
	scratch_load_b128 v[4:7], off, off offset:48 th:TH_LOAD_LU
	.loc	1 66 24                         ; attention_bwd.py:66:24 @[ attention_bwd.py:200:26 ]
	s_wait_loadcnt 0x0
	v_wmma_f32_16x16x16_f16 v[88:95], v[12:15], v[4:7], v[88:95]
	s_wait_dscnt 0x0
	v_wmma_f32_16x16x16_f16 v[200:207], v[0:3], v[4:7], v[200:207]
	scratch_load_b128 v[4:7], off, off offset:64 th:TH_LOAD_LU ; 16-byte Folded Reload
	s_wait_loadcnt 0x0
	v_wmma_f32_16x16x16_f16 v[208:215], v[12:15], v[4:7], v[208:215]
	s_clause 0x1                            ; 32-byte Folded Reload
	scratch_load_b128 v[8:11], off, off offset:416
	scratch_load_b128 v[12:15], off, off offset:432
	v_wmma_f32_16x16x16_f16 v[216:223], v[0:3], v[4:7], v[216:223]
	s_clause 0x1                            ; 32-byte Folded Reload
	scratch_load_b128 v[0:3], off, off offset:384
	scratch_load_b128 v[4:7], off, off offset:400
.LBB0_139:
	.loc	1 0 24 is_stmt 0                ; attention_bwd.py:0:24
	scratch_load_b32 v48, off, off offset:1340 th:TH_LOAD_LU ; 4-byte Folded Reload
	v_writelane_b32 v250, s58, 25
	s_mov_b32 s104, s28
	.loc	1 69 26 is_stmt 1               ; attention_bwd.py:69:26 @[ attention_bwd.py:200:26 ]
	s_and_b32 vcc_lo, exec_lo, s0
	v_writelane_b32 v250, s59, 26
	s_wait_loadcnt 0x0
	v_add_nc_u32_e32 v230, v232, v48
	s_wait_alu depctr_sa_sdst(0)
	s_cbranch_vccnz .LBB0_141
; %bb.140:
	.loc	1 0 26 is_stmt 0                ; attention_bwd.py:0:26
	scratch_load_b128 v[0:3], off, off offset:260 th:TH_LOAD_LU ; 16-byte Folded Reload
	v_dual_mov_b32 v4, v73 :: v_dual_mov_b32 v5, v74
	v_dual_mov_b32 v6, v75 :: v_dual_mov_b32 v7, v76
	;; [unrolled: 1-line block ×4, first 2 shown]
	s_delay_alu instid0(VALU_DEP_3)
	.loc	1 67 26 is_stmt 1               ; attention_bwd.py:67:26 @[ attention_bwd.py:200:26 ]
	v_sub_f32_e32 v78, v223, v7
	v_dual_mov_b32 v18, v92 :: v_dual_mov_b32 v19, v93
	v_dual_mov_b32 v20, v94 :: v_dual_mov_b32 v21, v95
	scratch_load_b128 v[10:13], off, off offset:368 th:TH_LOAD_LU ; 16-byte Folded Reload
	v_dual_sub_f32 v76, v222, v6 :: v_dual_sub_f32 v77, v220, v4
	v_sub_f32_e32 v80, v221, v5
	v_dual_sub_f32 v84, v206, v6 :: v_dual_sub_f32 v85, v204, v4
	v_dual_sub_f32 v86, v207, v7 :: v_dual_sub_f32 v87, v205, v5
	s_clause 0x3                            ; 64-byte Folded Reload
	scratch_load_b128 v[32:35], off, off offset:512 th:TH_LOAD_LU
	scratch_load_b128 v[36:39], off, off offset:528 th:TH_LOAD_LU
	;; [unrolled: 1-line block ×4, first 2 shown]
	v_dual_mov_b32 v104, v68 :: v_dual_mov_b32 v105, v69
	v_dual_mov_b32 v106, v70 :: v_dual_mov_b32 v107, v71
	ds_load_b128 v[68:71], v230 offset:3072
	ds_load_b128 v[72:75], v230 offset:3104
	v_dual_sub_f32 v96, v214, v194 :: v_dual_sub_f32 v97, v215, v195
	v_dual_mov_b32 v100, v64 :: v_dual_mov_b32 v101, v65
	v_dual_mov_b32 v102, v66 :: v_dual_mov_b32 v103, v67
	v_sub_f32_e32 v6, v19, v193
	ds_load_b128 v[64:67], v230 offset:2080
	s_wait_loadcnt 0x5
	v_sub_f32_e32 v79, v218, v2
	v_dual_sub_f32 v88, v202, v2 :: v_dual_sub_f32 v89, v200, v0
	scratch_load_b32 v2, off, off offset:256 th:TH_LOAD_LU ; 4-byte Folded Reload
	v_dual_sub_f32 v81, v216, v0 :: v_dual_sub_f32 v82, v219, v3
	v_dual_sub_f32 v83, v217, v1 :: v_dual_sub_f32 v90, v203, v3
	;; [unrolled: 1-line block ×3, first 2 shown]
	v_sub_f32_e32 v4, v21, v195
	v_sub_f32_e32 v98, v213, v193
	ds_load_b128 v[20:23], v230 offset:2048
	s_clause 0x1                            ; 32-byte Folded Reload
	scratch_load_b128 v[215:218], off, off offset:640 th:TH_LOAD_LU
	scratch_load_b128 v[219:222], off, off offset:656 th:TH_LOAD_LU
	s_wait_loadcnt 0x7
	v_sub_f32_e32 v1, v18, v13
	v_dual_sub_f32 v5, v16, v11 :: v_dual_sub_f32 v8, v17, v12
	v_sub_f32_e32 v9, v15, v10
	.loc	1 68 21                         ; attention_bwd.py:68:21 @[ attention_bwd.py:200:26 ]
	v_fma_mixlo_f16 v3, v228, v0, 0
	.loc	1 67 26                         ; attention_bwd.py:67:26 @[ attention_bwd.py:200:26 ]
	v_dual_sub_f32 v92, v212, v13 :: v_dual_sub_f32 v93, v210, v11
	v_dual_sub_f32 v94, v211, v12 :: v_dual_sub_f32 v95, v209, v10
	s_wait_loadcnt 0x2
	v_sub_f32_e32 v7, v14, v2
	v_sub_f32_e32 v99, v208, v2
	.loc	1 68 21                         ; attention_bwd.py:68:21 @[ attention_bwd.py:200:26 ]
	v_fma_mixlo_f16 v2, v192, v1, 0
	v_fma_mixlo_f16 v1, v55, v5, 0
	.loc	1 69 26                         ; attention_bwd.py:69:26 @[ attention_bwd.py:200:26 ]
	v_fma_mixhi_f16 v3, v233, v4, 0
	.loc	1 68 21                         ; attention_bwd.py:68:21 @[ attention_bwd.py:200:26 ]
	v_fma_mixlo_f16 v0, v53, v7, 0
	ds_load_b128 v[12:15], v230 offset:1024
	ds_load_b128 v[16:19], v230 offset:1056
	.loc	1 69 26                         ; attention_bwd.py:69:26 @[ attention_bwd.py:200:26 ]
	v_fma_mixhi_f16 v2, v238, v6, 0
	v_fma_mixhi_f16 v1, v54, v8, 0
	;; [unrolled: 1-line block ×3, first 2 shown]
	s_clause 0x1                            ; 32-byte Folded Reload
	scratch_load_b128 v[48:51], off, off offset:576 th:TH_LOAD_LU
	scratch_load_b128 v[52:55], off, off offset:592 th:TH_LOAD_LU
	ds_load_b128 v[4:7], v230
	ds_load_b128 v[8:11], v230 offset:32
	s_wait_dscnt 0x4
	v_wmma_f32_16x16x16_f16 v[40:47], v[20:23], v[0:3], v[40:47]
	s_wait_dscnt 0x3
	v_wmma_f32_16x16x16_f16 v[32:39], v[12:15], v[0:3], v[32:39]
	;; [unrolled: 2-line block ×3, first 2 shown]
	s_wait_loadcnt 0x0
	v_wmma_f32_16x16x16_f16 v[48:55], v[68:71], v[0:3], v[48:55]
	.loc	1 68 21                         ; attention_bwd.py:68:21 @[ attention_bwd.py:200:26 ]
	v_fma_mixlo_f16 v3, v59, v96, 0
	v_fma_mixlo_f16 v2, v57, v92, 0
	;; [unrolled: 1-line block ×4, first 2 shown]
	s_delay_alu instid0(VALU_DEP_4) | instskip(NEXT) | instid1(VALU_DEP_4)
	.loc	1 69 26                         ; attention_bwd.py:69:26 @[ attention_bwd.py:200:26 ]
	v_fma_mixhi_f16 v3, v58, v97, 0
	v_fma_mixhi_f16 v2, v56, v98, 0
	s_delay_alu instid0(VALU_DEP_4) | instskip(NEXT) | instid1(VALU_DEP_4)
	v_fma_mixhi_f16 v1, v237, v94, 0
	v_fma_mixhi_f16 v0, v235, v95, 0
	s_clause 0x5                            ; 96-byte Folded Reload
	scratch_load_b128 v[235:238], off, off offset:672 th:TH_LOAD_LU
	scratch_load_b128 v[239:242], off, off offset:688 th:TH_LOAD_LU
	;; [unrolled: 1-line block ×6, first 2 shown]
	v_wmma_f32_16x16x16_f16 v[215:222], v[4:7], v[0:3], v[215:222]
	s_wait_loadcnt 0x4
	v_wmma_f32_16x16x16_f16 v[235:242], v[12:15], v[0:3], v[235:242]
	s_wait_loadcnt 0x2
	v_wmma_f32_16x16x16_f16 v[92:99], v[20:23], v[0:3], v[92:99]
	s_wait_loadcnt 0x0
	v_wmma_f32_16x16x16_f16 v[56:63], v[68:71], v[0:3], v[56:63]
	.loc	1 68 21                         ; attention_bwd.py:68:21 @[ attention_bwd.py:200:26 ]
	v_fma_mixlo_f16 v3, v104, v84, 0
	v_fma_mixlo_f16 v2, v100, v85, 0
	;; [unrolled: 1-line block ×4, first 2 shown]
	s_delay_alu instid0(VALU_DEP_4) | instskip(NEXT) | instid1(VALU_DEP_4)
	.loc	1 69 26                         ; attention_bwd.py:69:26 @[ attention_bwd.py:200:26 ]
	v_fma_mixhi_f16 v3, v101, v86, 0
	v_fma_mixhi_f16 v2, v125, v87, 0
	s_delay_alu instid0(VALU_DEP_4) | instskip(NEXT) | instid1(VALU_DEP_4)
	v_fma_mixhi_f16 v1, v122, v90, 0
	v_fma_mixhi_f16 v0, v120, v91, 0
	s_wait_dscnt 0x0
	s_delay_alu instid0(VALU_DEP_1)
	v_wmma_f32_16x16x16_f16 v[24:31], v[8:11], v[0:3], v[24:31]
	v_wmma_f32_16x16x16_f16 v[32:39], v[16:19], v[0:3], v[32:39]
	;; [unrolled: 1-line block ×4, first 2 shown]
	.loc	1 68 21                         ; attention_bwd.py:68:21 @[ attention_bwd.py:200:26 ]
	v_fma_mixlo_f16 v3, v107, v76, 0
	v_fma_mixlo_f16 v2, v105, v77, 0
	;; [unrolled: 1-line block ×4, first 2 shown]
	s_delay_alu instid0(VALU_DEP_4) | instskip(NEXT) | instid1(VALU_DEP_4)
	.loc	1 69 26                         ; attention_bwd.py:69:26 @[ attention_bwd.py:200:26 ]
	v_fma_mixhi_f16 v3, v106, v78, 0
	v_fma_mixhi_f16 v2, v103, v80, 0
	s_delay_alu instid0(VALU_DEP_4) | instskip(NEXT) | instid1(VALU_DEP_4)
	v_fma_mixhi_f16 v1, v127, v82, 0
	v_fma_mixhi_f16 v0, v123, v83, 0
	s_delay_alu instid0(VALU_DEP_1)
	v_wmma_f32_16x16x16_f16 v[215:222], v[8:11], v[0:3], v[215:222]
	v_wmma_f32_16x16x16_f16 v[235:242], v[16:19], v[0:3], v[235:242]
	;; [unrolled: 1-line block ×4, first 2 shown]
	s_branch .LBB0_142
.Ltmp125:
.LBB0_141:
	.loc	1 0 26 is_stmt 0                ; attention_bwd.py:0:26
	v_dual_mov_b32 v135, v47 :: v_dual_mov_b32 v134, v46
	v_dual_mov_b32 v151, v39 :: v_dual_mov_b32 v150, v38
	;; [unrolled: 1-line block ×10, first 2 shown]
	s_clause 0xf                            ; 256-byte Folded Reload
	scratch_load_b128 v[184:187], off, off offset:448 th:TH_LOAD_LU
	scratch_load_b128 v[188:191], off, off offset:464 th:TH_LOAD_LU
	scratch_load_b128 v[32:35], off, off offset:512
	scratch_load_b128 v[36:39], off, off offset:528
	scratch_load_b128 v[40:43], off, off offset:544
	scratch_load_b128 v[44:47], off, off offset:560
	scratch_load_b128 v[48:51], off, off offset:576
	scratch_load_b128 v[52:55], off, off offset:592
	scratch_load_b128 v[56:59], off, off offset:608
	scratch_load_b128 v[60:63], off, off offset:624
	scratch_load_b128 v[215:218], off, off offset:640
	scratch_load_b128 v[219:222], off, off offset:656
	scratch_load_b128 v[235:238], off, off offset:672
	scratch_load_b128 v[239:242], off, off offset:688
	scratch_load_b128 v[92:95], off, off offset:704
	scratch_load_b128 v[96:99], off, off offset:720
	v_dual_mov_b32 v183, v119 :: v_dual_mov_b32 v182, v118
	v_dual_mov_b32 v140, v100 :: v_dual_mov_b32 v141, v101
	;; [unrolled: 1-line block ×18, first 2 shown]
.LBB0_142:
	.loc	1 171 38 is_stmt 1              ; attention_bwd.py:171:38
	v_mul_lo_u32 v0, s18, v249
	v_readlane_b32 s0, v253, 3
	v_readlane_b32 s2, v253, 5
	.loc	1 205 22                        ; attention_bwd.py:205:22
	v_cvt_f16_f32_e64 v211, v131
	v_cvt_f16_f32_e64 v210, v132
	;; [unrolled: 1-line block ×4, first 2 shown]
	.loc	1 210 22                        ; attention_bwd.py:210:22
	s_wait_loadcnt 0x5
	s_wait_alu depctr_va_sdst(0)
	v_fma_mixlo_f16 v112, s2, v215, 0
	.loc	1 204 19                        ; attention_bwd.py:204:19
	v_ashrrev_i32_e32 v1, 31, v0
	.loc	1 210 22                        ; attention_bwd.py:210:22
	v_fma_mixlo_f16 v111, s2, v216, 0
	.loc	1 205 22                        ; attention_bwd.py:205:22
	v_cvt_f16_f32_e64 v207, v135
	v_cvt_f16_f32_e64 v206, v136
	;; [unrolled: 1-line block ×3, first 2 shown]
	.loc	1 204 19                        ; attention_bwd.py:204:19
	v_lshlrev_b64_e32 v[215:216], 1, v[0:1]
	.loc	1 171 69                        ; attention_bwd.py:171:69
	scratch_load_b32 v0, off, off offset:1352 ; 4-byte Folded Reload
	.loc	1 205 22                        ; attention_bwd.py:205:22
	v_cvt_f16_f32_e64 v204, v138
	v_cvt_f16_f32_e64 v203, v139
	;; [unrolled: 1-line block ×17, first 2 shown]
	.loc	1 210 22                        ; attention_bwd.py:210:22
	v_fma_mixlo_f16 v146, s2, v24, 0
	v_fma_mixlo_f16 v145, s2, v25, 0
	;; [unrolled: 1-line block ×32, first 2 shown]
	v_readlane_b32 s1, v253, 4
	.loc	1 154 10                        ; attention_bwd.py:154:10
	s_add_nc_u64 s[0:1], s[78:79], s[16:17]
	.loc	1 210 22                        ; attention_bwd.py:210:22
	s_wait_loadcnt 0x2
	v_fma_mixlo_f16 v77, s2, v92, 0
	v_fma_mixlo_f16 v76, s2, v93, 0
	.loc	1 204 19                        ; attention_bwd.py:204:19
	s_wait_alu depctr_sa_sdst(0)
	v_add_co_u32 v20, vcc_lo, s0, v215
	s_wait_alu depctr_va_vcc(0)
	v_add_co_ci_u32_e64 v21, null, s1, v216, vcc_lo
	.loc	1 205 22                        ; attention_bwd.py:205:22
	v_cvt_f16_f32_e64 v214, v128
	.loc	1 210 22                        ; attention_bwd.py:210:22
	v_fma_mixlo_f16 v8, s2, v63, 0
	v_fma_mixlo_f16 v80, s2, v94, 0
	;; [unrolled: 1-line block ×3, first 2 shown]
	.loc	1 205 22                        ; attention_bwd.py:205:22
	v_cvt_f16_f32_e64 v213, v129
	.loc	1 210 22                        ; attention_bwd.py:210:22
	s_wait_loadcnt 0x1
	v_fma_mixlo_f16 v19, s2, v96, 0
	v_fma_mixlo_f16 v18, s2, v97, 0
	;; [unrolled: 1-line block ×4, first 2 shown]
	.loc	1 205 22                        ; attention_bwd.py:205:22
	v_cvt_f16_f32_e64 v212, v130
	v_cvt_f16_f32_e64 v102, v164
	;; [unrolled: 1-line block ×38, first 2 shown]
	.loc	1 210 22                        ; attention_bwd.py:210:22
	v_fma_mixlo_f16 v130, s2, v40, 0
	v_fma_mixlo_f16 v129, s2, v41, 0
	;; [unrolled: 1-line block ×16, first 2 shown]
	v_readlane_b32 s84, v253, 24
	v_readlane_b32 s85, v253, 25
	v_readlane_b32 s82, v253, 26
	v_readlane_b32 s83, v253, 27
	v_readlane_b32 s78, v253, 28
	v_readlane_b32 s79, v253, 29
	v_fma_mixlo_f16 v160, s2, v238, 0
	v_fma_mixlo_f16 v157, s2, v239, 0
	;; [unrolled: 1-line block ×5, first 2 shown]
	v_readlane_b32 s60, v255, 2
	v_readlane_b32 s61, v255, 3
	;; [unrolled: 1-line block ×56, first 2 shown]
	v_dual_mov_b32 v228, v248 :: v_dual_mov_b32 v231, v249
	.loc	1 171 69                        ; attention_bwd.py:171:69
	s_wait_loadcnt 0x0
	v_mul_lo_u32 v4, s19, v0
	s_delay_alu instid0(VALU_DEP_1)
	v_mad_co_u64_u32 v[22:23], null, s19, 3, v[4:5]
	v_mad_co_u64_u32 v[24:25], null, s19, 5, v[4:5]
	;; [unrolled: 1-line block ×22, first 2 shown]
	.loc	1 204 50                        ; attention_bwd.py:204:50
	v_ashrrev_i32_e32 v5, 31, v4
	v_ashrrev_i32_e32 v23, 31, v22
	;; [unrolled: 1-line block ×5, first 2 shown]
	v_lshlrev_b64_e32 v[92:93], 1, v[4:5]
	v_lshlrev_b64_e32 v[98:99], 1, v[22:23]
	;; [unrolled: 1-line block ×5, first 2 shown]
	v_ashrrev_i32_e32 v31, 31, v30
	v_add_co_u32 v62, vcc_lo, v20, v92
	s_wait_alu depctr_va_vcc(0)
	v_add_co_ci_u32_e64 v63, null, v21, v93, vcc_lo
	s_delay_alu instid0(VALU_DEP_3)
	v_lshlrev_b64_e32 v[29:30], 1, v[30:31]
	v_ashrrev_i32_e32 v33, 31, v32
	v_ashrrev_i32_e32 v35, 31, v34
	.loc	1 205 22                        ; attention_bwd.py:205:22
	global_store_b16 v[62:63], v214, off
	.loc	1 171 69                        ; attention_bwd.py:171:69
	v_add_nc_u32_e32 v62, s19, v4
	.loc	1 204 50                        ; attention_bwd.py:204:50
	v_ashrrev_i32_e32 v37, 31, v36
	v_lshlrev_b64_e32 v[170:171], 1, v[32:33]
	v_lshlrev_b64_e32 v[172:173], 1, v[34:35]
	v_ashrrev_i32_e32 v39, 31, v38
	v_ashrrev_i32_e32 v63, 31, v62
	v_lshlrev_b64_e32 v[176:177], 1, v[36:37]
	v_ashrrev_i32_e32 v48, 31, v47
	v_ashrrev_i32_e32 v50, 31, v49
	v_lshlrev_b64_e32 v[178:179], 1, v[38:39]
	v_lshlrev_b64_e32 v[94:95], 1, v[62:63]
	v_ashrrev_i32_e32 v52, 31, v51
	v_lshlrev_b64_e32 v[180:181], 1, v[47:48]
	v_lshlrev_b64_e32 v[184:185], 1, v[49:50]
	v_ashrrev_i32_e32 v54, 31, v53
	v_ashrrev_i32_e32 v56, 31, v55
	v_add_co_u32 v62, vcc_lo, v20, v94
	s_wait_alu depctr_va_vcc(0)
	v_add_co_ci_u32_e64 v63, null, v21, v95, vcc_lo
	v_lshlrev_b64_e32 v[186:187], 1, v[51:52]
	v_lshlrev_b64_e32 v[188:189], 1, v[53:54]
	v_ashrrev_i32_e32 v58, 31, v57
	.loc	1 205 22                        ; attention_bwd.py:205:22
	global_store_b16 v[62:63], v213, off
	.loc	1 171 69                        ; attention_bwd.py:171:69
	v_lshl_add_u32 v62, s19, 1, v4
	.loc	1 204 50                        ; attention_bwd.py:204:50
	v_ashrrev_i32_e32 v60, 31, v59
	v_ashrrev_i32_e32 v153, 31, v152
	;; [unrolled: 1-line block ×3, first 2 shown]
	.loc	1 171 69                        ; attention_bwd.py:171:69
	v_add_nc_u32_e32 v3, s59, v4
	.loc	1 204 50                        ; attention_bwd.py:204:50
	v_ashrrev_i32_e32 v63, 31, v62
	v_ashrrev_i32_e32 v7, 31, v6
	v_lshlrev_b64_e32 v[152:153], 1, v[152:153]
	v_ashrrev_i32_e32 v1, 31, v0
	v_readlane_b32 s58, v255, 0
	v_lshlrev_b64_e32 v[96:97], 1, v[62:63]
	v_readlane_b32 s59, v255, 1
	s_clause 0x3                            ; 32-byte Folded Spill
	scratch_store_b64 off, v[184:185], off offset:1156
	scratch_store_b64 off, v[186:187], off offset:1164
	scratch_store_b64 off, v[188:189], off offset:1172
	scratch_store_b64 off, v[152:153], off offset:1236
	v_add_co_u32 v62, vcc_lo, v20, v96
	s_wait_alu depctr_va_vcc(0)
	v_add_co_ci_u32_e64 v63, null, v21, v97, vcc_lo
	v_add_co_u32 v22, vcc_lo, v20, v98
	s_wait_alu depctr_va_vcc(0)
	v_add_co_ci_u32_e64 v23, null, v21, v99, vcc_lo
	.loc	1 205 22                        ; attention_bwd.py:205:22
	global_store_b16 v[62:63], v212, off
	.loc	1 204 50                        ; attention_bwd.py:204:50
	v_ashrrev_i32_e32 v62, 31, v61
	s_clause 0x1                            ; 16-byte Folded Spill
	scratch_store_b64 off, v[94:95], off offset:1028
	scratch_store_b64 off, v[29:30], off offset:1092
	.loc	1 205 22                        ; attention_bwd.py:205:22
	global_store_b16 v[22:23], v211, off
	.loc	1 171 69                        ; attention_bwd.py:171:69
	v_add_nc_u32_e32 v22, s14, v4
	s_clause 0x3                            ; 32-byte Folded Spill
	scratch_store_b64 off, v[96:97], off offset:1036
	scratch_store_b64 off, v[170:171], off offset:1100
	;; [unrolled: 1-line block ×4, first 2 shown]
	.loc	1 204 50                        ; attention_bwd.py:204:50
	v_ashrrev_i32_e32 v23, 31, v22
	s_clause 0x3                            ; 32-byte Folded Spill
	scratch_store_b64 off, v[166:167], off offset:1060
	scratch_store_b64 off, v[176:177], off offset:1124
	;; [unrolled: 1-line block ×4, first 2 shown]
	v_lshlrev_b64_e32 v[164:165], 1, v[22:23]
	s_clause 0x1                            ; 16-byte Folded Spill
	scratch_store_b64 off, v[27:28], off offset:1076
	scratch_store_b64 off, v[180:181], off offset:1140
	v_add_co_u32 v22, vcc_lo, v20, v164
	s_wait_alu depctr_va_vcc(0)
	v_add_co_ci_u32_e64 v23, null, v21, v165, vcc_lo
	.loc	1 205 22                        ; attention_bwd.py:205:22
	global_store_b16 v[22:23], v210, off
	.loc	1 204 50                        ; attention_bwd.py:204:50
	v_add_co_u32 v22, vcc_lo, v20, v166
	s_wait_alu depctr_va_vcc(0)
	v_add_co_ci_u32_e64 v23, null, v21, v167, vcc_lo
	.loc	1 205 22                        ; attention_bwd.py:205:22
	global_store_b16 v[22:23], v209, off
	.loc	1 204 50                        ; attention_bwd.py:204:50
	;; [unrolled: 6-line block ×4, first 2 shown]
	v_add_nc_u32_e32 v22, s29, v4
	v_readlane_b32 s28, v254, 3
	v_readlane_b32 s29, v254, 4
	s_delay_alu instid0(VALU_DEP_3) | instskip(NEXT) | instid1(VALU_DEP_1)
	.loc	1 204 50                        ; attention_bwd.py:204:50
	v_ashrrev_i32_e32 v23, 31, v22
	v_lshlrev_b64_e32 v[168:169], 1, v[22:23]
	s_clause 0x1                            ; 16-byte Folded Spill
	scratch_store_b64 off, v[92:93], off offset:1020
	scratch_store_b64 off, v[168:169], off offset:1084
	v_add_co_u32 v22, vcc_lo, v20, v168
	s_wait_alu depctr_va_vcc(0)
	v_add_co_ci_u32_e64 v23, null, v21, v169, vcc_lo
	.loc	1 205 22                        ; attention_bwd.py:205:22
	global_store_b16 v[22:23], v206, off
	.loc	1 204 50                        ; attention_bwd.py:204:50
	v_add_co_u32 v22, vcc_lo, v20, v29
	s_wait_alu depctr_va_vcc(0)
	v_add_co_ci_u32_e64 v23, null, v21, v30, vcc_lo
	.loc	1 205 22                        ; attention_bwd.py:205:22
	global_store_b16 v[22:23], v205, off
	.loc	1 204 50                        ; attention_bwd.py:204:50
	v_add_co_u32 v22, vcc_lo, v20, v170
	s_wait_alu depctr_va_vcc(0)
	v_add_co_ci_u32_e64 v23, null, v21, v171, vcc_lo
	.loc	1 205 22                        ; attention_bwd.py:205:22
	global_store_b16 v[22:23], v204, off
	.loc	1 204 50                        ; attention_bwd.py:204:50
	v_add_co_u32 v22, vcc_lo, v20, v172
	s_wait_alu depctr_va_vcc(0)
	v_add_co_ci_u32_e64 v23, null, v21, v173, vcc_lo
	v_lshlrev_b64_e32 v[204:205], 1, v[0:1]
	.loc	1 205 22                        ; attention_bwd.py:205:22
	global_store_b16 v[22:23], v203, off
	.loc	1 171 69                        ; attention_bwd.py:171:69
	v_add_nc_u32_e32 v22, s15, v4
	v_readlane_b32 s14, v254, 23
	v_readlane_b32 s15, v254, 24
	scratch_store_b64 off, v[204:205], off offset:1276 ; 8-byte Folded Spill
	.loc	1 204 50                        ; attention_bwd.py:204:50
	v_ashrrev_i32_e32 v23, 31, v22
	s_delay_alu instid0(VALU_DEP_1)
	v_lshlrev_b64_e32 v[174:175], 1, v[22:23]
	s_clause 0x1                            ; 16-byte Folded Spill
	scratch_store_b64 off, v[164:165], off offset:1052
	scratch_store_b64 off, v[174:175], off offset:1116
	v_add_co_u32 v22, vcc_lo, v20, v174
	s_wait_alu depctr_va_vcc(0)
	v_add_co_ci_u32_e64 v23, null, v21, v175, vcc_lo
	.loc	1 205 22                        ; attention_bwd.py:205:22
	global_store_b16 v[22:23], v202, off
	.loc	1 204 50                        ; attention_bwd.py:204:50
	v_add_co_u32 v22, vcc_lo, v20, v176
	s_wait_alu depctr_va_vcc(0)
	v_add_co_ci_u32_e64 v23, null, v21, v177, vcc_lo
	.loc	1 205 22                        ; attention_bwd.py:205:22
	global_store_b16 v[22:23], v201, off
	.loc	1 204 50                        ; attention_bwd.py:204:50
	;; [unrolled: 6-line block ×3, first 2 shown]
	v_add_co_u32 v22, vcc_lo, v20, v180
	s_wait_alu depctr_va_vcc(0)
	v_add_co_ci_u32_e64 v23, null, v21, v181, vcc_lo
	v_lshlrev_b64_e32 v[200:201], 1, v[6:7]
	.loc	1 205 22                        ; attention_bwd.py:205:22
	global_store_b16 v[22:23], v199, off
	.loc	1 171 69                        ; attention_bwd.py:171:69
	v_add_nc_u32_e32 v22, s51, v4
	s_delay_alu instid0(VALU_DEP_1) | instskip(NEXT) | instid1(VALU_DEP_1)
	.loc	1 204 50                        ; attention_bwd.py:204:50
	v_ashrrev_i32_e32 v23, 31, v22
	v_lshlrev_b64_e32 v[182:183], 1, v[22:23]
	s_delay_alu instid0(VALU_DEP_1) | instskip(SKIP_1) | instid1(VALU_DEP_2)
	v_add_co_u32 v22, vcc_lo, v20, v182
	s_wait_alu depctr_va_vcc(0)
	v_add_co_ci_u32_e64 v23, null, v21, v183, vcc_lo
	scratch_store_b64 off, v[182:183], off offset:1148 ; 8-byte Folded Spill
	.loc	1 205 22                        ; attention_bwd.py:205:22
	global_store_b16 v[22:23], v198, off
	.loc	1 204 50                        ; attention_bwd.py:204:50
	v_add_co_u32 v22, vcc_lo, v20, v184
	s_wait_alu depctr_va_vcc(0)
	v_add_co_ci_u32_e64 v23, null, v21, v185, vcc_lo
	.loc	1 205 22                        ; attention_bwd.py:205:22
	global_store_b16 v[22:23], v197, off
	.loc	1 204 50                        ; attention_bwd.py:204:50
	v_add_co_u32 v22, vcc_lo, v20, v186
	s_wait_alu depctr_va_vcc(0)
	v_add_co_ci_u32_e64 v23, null, v21, v187, vcc_lo
	;; [unrolled: 6-line block ×3, first 2 shown]
	v_lshlrev_b64_e32 v[196:197], 1, v[57:58]
	.loc	1 205 22                        ; attention_bwd.py:205:22
	global_store_b16 v[22:23], v195, off
	.loc	1 171 69                        ; attention_bwd.py:171:69
	v_add_nc_u32_e32 v22, s50, v4
	v_readlane_b32 s50, v253, 30
	v_readlane_b32 s51, v253, 31
	scratch_store_b64 off, v[196:197], off offset:1204 ; 8-byte Folded Spill
	.loc	1 204 50                        ; attention_bwd.py:204:50
	v_ashrrev_i32_e32 v23, 31, v22
	s_delay_alu instid0(VALU_DEP_1) | instskip(NEXT) | instid1(VALU_DEP_1)
	v_lshlrev_b64_e32 v[190:191], 1, v[22:23]
	v_add_co_u32 v22, vcc_lo, v20, v190
	s_wait_alu depctr_va_vcc(0)
	s_delay_alu instid0(VALU_DEP_2)
	v_add_co_ci_u32_e64 v23, null, v21, v191, vcc_lo
	scratch_store_b64 off, v[190:191], off offset:1180 ; 8-byte Folded Spill
	.loc	1 205 22                        ; attention_bwd.py:205:22
	global_store_b16 v[22:23], v194, off
	.loc	1 204 50                        ; attention_bwd.py:204:50
	v_lshlrev_b64_e32 v[194:195], 1, v[55:56]
	s_clause 0x1                            ; 16-byte Folded Spill
	scratch_store_b64 off, v[215:216], off offset:1188
	scratch_store_b64 off, v[194:195], off offset:1196
	v_add_co_u32 v22, vcc_lo, v20, v194
	s_wait_alu depctr_va_vcc(0)
	v_add_co_ci_u32_e64 v23, null, v21, v195, vcc_lo
	.loc	1 205 22                        ; attention_bwd.py:205:22
	global_store_b16 v[22:23], v193, off
	.loc	1 204 50                        ; attention_bwd.py:204:50
	v_add_co_u32 v22, vcc_lo, v20, v196
	s_wait_alu depctr_va_vcc(0)
	v_add_co_ci_u32_e64 v23, null, v21, v197, vcc_lo
	.loc	1 205 22                        ; attention_bwd.py:205:22
	global_store_b16 v[22:23], v192, off
	.loc	1 204 50                        ; attention_bwd.py:204:50
	v_lshlrev_b64_e32 v[192:193], 1, v[59:60]
	s_delay_alu instid0(VALU_DEP_1) | instskip(SKIP_1) | instid1(VALU_DEP_2)
	v_add_co_u32 v22, vcc_lo, v20, v192
	s_wait_alu depctr_va_vcc(0)
	v_add_co_ci_u32_e64 v23, null, v21, v193, vcc_lo
	.loc	1 205 22                        ; attention_bwd.py:205:22
	global_store_b16 v[22:23], v151, off
	.loc	1 171 69                        ; attention_bwd.py:171:69
	v_add_nc_u32_e32 v22, s33, v4
	.loc	1 204 50                        ; attention_bwd.py:204:50
	v_ashrrev_i32_e32 v4, 31, v3
	s_delay_alu instid0(VALU_DEP_2) | instskip(NEXT) | instid1(VALU_DEP_1)
	v_ashrrev_i32_e32 v23, 31, v22
	v_lshlrev_b64_e32 v[198:199], 1, v[22:23]
	scratch_store_b64 off, v[192:193], off offset:1212 ; 8-byte Folded Spill
	v_add_co_u32 v22, vcc_lo, v20, v198
	s_wait_alu depctr_va_vcc(0)
	v_add_co_ci_u32_e64 v23, null, v21, v199, vcc_lo
	.loc	1 205 22                        ; attention_bwd.py:205:22
	global_store_b16 v[22:23], v150, off
	.loc	1 204 50                        ; attention_bwd.py:204:50
	v_lshlrev_b64_e32 v[150:151], 1, v[61:62]
	s_clause 0x1                            ; 16-byte Folded Spill
	scratch_store_b64 off, v[198:199], off offset:1220
	scratch_store_b64 off, v[150:151], off offset:1228
	v_add_co_u32 v22, vcc_lo, v20, v150
	s_wait_alu depctr_va_vcc(0)
	v_add_co_ci_u32_e64 v23, null, v21, v151, vcc_lo
	.loc	1 205 22                        ; attention_bwd.py:205:22
	global_store_b16 v[22:23], v149, off
	.loc	1 204 50                        ; attention_bwd.py:204:50
	v_add_co_u32 v22, vcc_lo, v20, v152
	s_wait_alu depctr_va_vcc(0)
	v_add_co_ci_u32_e64 v23, null, v21, v153, vcc_lo
	.loc	1 205 22                        ; attention_bwd.py:205:22
	global_store_b16 v[22:23], v148, off
	.loc	1 204 50                        ; attention_bwd.py:204:50
	v_lshlrev_b64_e32 v[148:149], 1, v[154:155]
	v_lshlrev_b64_e32 v[154:155], 1, v[3:4]
	s_delay_alu instid0(VALU_DEP_2) | instskip(SKIP_1) | instid1(VALU_DEP_3)
	v_add_co_u32 v22, vcc_lo, v20, v148
	s_wait_alu depctr_va_vcc(0)
	v_add_co_ci_u32_e64 v23, null, v21, v149, vcc_lo
	s_clause 0x1                            ; 16-byte Folded Spill
	scratch_store_b64 off, v[148:149], off offset:1244
	scratch_store_b64 off, v[154:155], off offset:1252
	.loc	1 205 22                        ; attention_bwd.py:205:22
	global_store_b16 v[22:23], v147, off
	scratch_load_b64 v[23:24], off, off offset:1600 th:TH_LOAD_LU ; 8-byte Folded Reload
.Ltmp126:
	.loc	1 93 18                         ; attention_bwd.py:93:18 @[ attention_bwd.py:240:70 ]
	s_wait_loadcnt 0x0
	v_add_co_u32 v5, vcc_lo, s98, v23
	v_writelane_b32 v250, s98, 23
	s_wait_alu depctr_va_vcc(0)
	v_add_co_ci_u32_e64 v22, null, s99, v24, vcc_lo
	.loc	1 94 18                         ; attention_bwd.py:94:18 @[ attention_bwd.py:240:70 ]
	v_add_co_u32 v23, vcc_lo, s34, v23
	v_writelane_b32 v250, s99, 24
	v_readlane_b32 s98, v251, 19
	v_readlane_b32 s99, v251, 20
	v_writelane_b32 v250, s34, 21
	s_wait_alu depctr_va_vcc(0)
	v_add_co_ci_u32_e64 v24, null, s35, v24, vcc_lo
.Ltmp127:
	.loc	1 204 50                        ; attention_bwd.py:204:50
	v_add_co_u32 v3, vcc_lo, v20, v154
	s_wait_alu depctr_va_vcc(0)
	v_add_co_ci_u32_e64 v4, null, v21, v155, vcc_lo
	v_writelane_b32 v250, s35, 22
	v_readlane_b32 s34, v254, 7
	v_readlane_b32 s35, v254, 8
	.loc	1 205 22                        ; attention_bwd.py:205:22
	global_store_b16 v[3:4], v118, off
	.loc	1 204 50                        ; attention_bwd.py:204:50
	v_add_co_u32 v3, vcc_lo, v20, v200
	s_wait_alu depctr_va_vcc(0)
	v_add_co_ci_u32_e64 v4, null, v21, v201, vcc_lo
	v_readlane_b32 s2, v250, 0
	v_readlane_b32 s3, v250, 1
	.loc	1 205 22                        ; attention_bwd.py:205:22
	global_store_b16 v[3:4], v116, off
	scratch_load_b64 v[3:4], off, off offset:1592 th:TH_LOAD_LU ; 8-byte Folded Reload
.Ltmp128:
	.loc	1 93 49                         ; attention_bwd.py:93:49 @[ attention_bwd.py:240:70 ]
	s_wait_loadcnt 0x0
	v_add_co_u32 v6, vcc_lo, v5, v3
	s_wait_alu depctr_va_vcc(0)
	v_add_co_ci_u32_e64 v7, null, v22, v4, vcc_lo
	.loc	1 94 49                         ; attention_bwd.py:94:49 @[ attention_bwd.py:240:70 ]
	v_add_co_u32 v3, vcc_lo, v23, v3
	s_wait_alu depctr_va_vcc(0)
	v_add_co_ci_u32_e64 v4, null, v24, v4, vcc_lo
	scratch_store_b64 off, v[6:7], off      ; 8-byte Folded Spill
.Ltmp129:
	.loc	1 204 50                        ; attention_bwd.py:204:50
	v_add_co_u32 v0, vcc_lo, v20, v204
	scratch_store_b64 off, v[3:4], off offset:16 ; 8-byte Folded Spill
	v_ashrrev_i32_e32 v3, 31, v2
	s_wait_alu depctr_va_vcc(0)
	v_add_co_ci_u32_e64 v1, null, v21, v205, vcc_lo
	s_delay_alu instid0(VALU_DEP_2)
	v_lshlrev_b64_e32 v[202:203], 1, v[2:3]
	s_clause 0x1                            ; 16-byte Folded Spill
	scratch_store_b64 off, v[200:201], off offset:1260
	scratch_store_b64 off, v[202:203], off offset:1268
	v_add_co_u32 v2, vcc_lo, v20, v202
	s_wait_alu depctr_va_vcc(0)
	v_add_co_ci_u32_e64 v3, null, v21, v203, vcc_lo
	.loc	1 205 22                        ; attention_bwd.py:205:22
	s_clause 0x1
	global_store_b16 v[0:1], v108, off
	global_store_b16 v[2:3], v109, off
	.loc	1 171 38                        ; attention_bwd.py:171:38
	v_mul_lo_u32 v0, s18, v248
	v_readlane_b32 s18, v254, 25
	v_readlane_b32 s19, v254, 26
	s_delay_alu instid0(VALU_DEP_3) | instskip(NEXT) | instid1(VALU_DEP_1)
	.loc	1 204 19                        ; attention_bwd.py:204:19
	v_ashrrev_i32_e32 v1, 31, v0
	v_lshlrev_b64_e32 v[108:109], 1, v[0:1]
	s_delay_alu instid0(VALU_DEP_1) | instskip(SKIP_1) | instid1(VALU_DEP_2)
	v_add_co_u32 v20, vcc_lo, s0, v108
	s_wait_alu depctr_va_vcc(0)
	v_add_co_ci_u32_e64 v21, null, s1, v109, vcc_lo
	.loc	1 153 10                        ; attention_bwd.py:153:10
	s_add_nc_u64 s[0:1], s[76:77], s[16:17]
	.loc	1 204 50                        ; attention_bwd.py:204:50
	v_add_co_u32 v0, vcc_lo, v20, v92
	s_wait_alu depctr_va_vcc(0)
	v_add_co_ci_u32_e64 v1, null, v21, v93, vcc_lo
	scratch_store_b64 off, v[108:109], off offset:1284 ; 8-byte Folded Spill
	v_readlane_b32 s76, v255, 22
	v_readlane_b32 s77, v255, 23
	.loc	1 205 22                        ; attention_bwd.py:205:22
	global_store_b16 v[0:1], v107, off
	.loc	1 204 50                        ; attention_bwd.py:204:50
	v_add_co_u32 v0, vcc_lo, v20, v94
	s_wait_alu depctr_va_vcc(0)
	v_add_co_ci_u32_e64 v1, null, v21, v95, vcc_lo
	.loc	1 205 22                        ; attention_bwd.py:205:22
	global_store_b16 v[0:1], v106, off
	scratch_load_b64 v[0:1], off, off offset:1584 th:TH_LOAD_LU ; 8-byte Folded Reload
.Ltmp130:
	.loc	1 93 49                         ; attention_bwd.py:93:49 @[ attention_bwd.py:240:70 ]
	s_wait_loadcnt 0x0
	v_add_co_u32 v2, vcc_lo, v5, v0
	s_wait_alu depctr_va_vcc(0)
	v_add_co_ci_u32_e64 v3, null, v22, v1, vcc_lo
	.loc	1 94 49                         ; attention_bwd.py:94:49 @[ attention_bwd.py:240:70 ]
	v_add_co_u32 v0, vcc_lo, v23, v0
	s_wait_alu depctr_va_vcc(0)
	v_add_co_ci_u32_e64 v1, null, v24, v1, vcc_lo
	s_clause 0x1                            ; 16-byte Folded Spill
	scratch_store_b64 off, v[2:3], off offset:48
	scratch_store_b64 off, v[0:1], off offset:32
.Ltmp131:
	.loc	1 204 50                        ; attention_bwd.py:204:50
	v_add_co_u32 v0, vcc_lo, v20, v96
	s_wait_alu depctr_va_vcc(0)
	v_add_co_ci_u32_e64 v1, null, v21, v97, vcc_lo
	.loc	1 205 22                        ; attention_bwd.py:205:22
	global_store_b16 v[0:1], v105, off
	.loc	1 204 50                        ; attention_bwd.py:204:50
	v_add_co_u32 v0, vcc_lo, v20, v98
	s_wait_alu depctr_va_vcc(0)
	v_add_co_ci_u32_e64 v1, null, v21, v99, vcc_lo
	.loc	1 205 22                        ; attention_bwd.py:205:22
	global_store_b16 v[0:1], v104, off
	scratch_load_b64 v[0:1], off, off offset:1576 th:TH_LOAD_LU ; 8-byte Folded Reload
.Ltmp132:
	.loc	1 93 49                         ; attention_bwd.py:93:49 @[ attention_bwd.py:240:70 ]
	s_wait_loadcnt 0x0
	v_add_co_u32 v2, vcc_lo, v5, v0
	s_wait_alu depctr_va_vcc(0)
	v_add_co_ci_u32_e64 v3, null, v22, v1, vcc_lo
	.loc	1 94 49                         ; attention_bwd.py:94:49 @[ attention_bwd.py:240:70 ]
	v_add_co_u32 v0, vcc_lo, v23, v0
	s_wait_alu depctr_va_vcc(0)
	v_add_co_ci_u32_e64 v1, null, v24, v1, vcc_lo
	s_clause 0x1                            ; 16-byte Folded Spill
	scratch_store_b64 off, v[2:3], off offset:80
	scratch_store_b64 off, v[0:1], off offset:64
.Ltmp133:
	.loc	1 204 50                        ; attention_bwd.py:204:50
	v_add_co_u32 v0, vcc_lo, v20, v164
	s_wait_alu depctr_va_vcc(0)
	v_add_co_ci_u32_e64 v1, null, v21, v165, vcc_lo
	.loc	1 205 22                        ; attention_bwd.py:205:22
	global_store_b16 v[0:1], v102, off
	.loc	1 204 50                        ; attention_bwd.py:204:50
	v_add_co_u32 v0, vcc_lo, v20, v166
	s_wait_alu depctr_va_vcc(0)
	v_add_co_ci_u32_e64 v1, null, v21, v167, vcc_lo
	.loc	1 205 22                        ; attention_bwd.py:205:22
	global_store_b16 v[0:1], v101, off
	scratch_load_b64 v[0:1], off, off offset:1568 th:TH_LOAD_LU ; 8-byte Folded Reload
.Ltmp134:
	.loc	1 93 49                         ; attention_bwd.py:93:49 @[ attention_bwd.py:240:70 ]
	s_wait_loadcnt 0x0
	v_add_co_u32 v2, vcc_lo, v5, v0
	s_wait_alu depctr_va_vcc(0)
	v_add_co_ci_u32_e64 v3, null, v22, v1, vcc_lo
	.loc	1 94 49                         ; attention_bwd.py:94:49 @[ attention_bwd.py:240:70 ]
	v_add_co_u32 v0, vcc_lo, v23, v0
	s_wait_alu depctr_va_vcc(0)
	v_add_co_ci_u32_e64 v1, null, v24, v1, vcc_lo
	s_clause 0x1                            ; 16-byte Folded Spill
	scratch_store_b64 off, v[2:3], off offset:112
	scratch_store_b64 off, v[0:1], off offset:96
.Ltmp135:
	.loc	1 204 50                        ; attention_bwd.py:204:50
	v_add_co_u32 v0, vcc_lo, v20, v25
	s_wait_alu depctr_va_vcc(0)
	v_add_co_ci_u32_e64 v1, null, v21, v26, vcc_lo
	.loc	1 205 22                        ; attention_bwd.py:205:22
	global_store_b16 v[0:1], v163, off
	.loc	1 204 50                        ; attention_bwd.py:204:50
	v_add_co_u32 v0, vcc_lo, v20, v27
	s_wait_alu depctr_va_vcc(0)
	v_add_co_ci_u32_e64 v1, null, v21, v28, vcc_lo
	.loc	1 205 22                        ; attention_bwd.py:205:22
	global_store_b16 v[0:1], v162, off
	scratch_load_b64 v[0:1], off, off offset:1560 th:TH_LOAD_LU ; 8-byte Folded Reload
.Ltmp136:
	.loc	1 93 49                         ; attention_bwd.py:93:49 @[ attention_bwd.py:240:70 ]
	s_wait_loadcnt 0x0
	v_add_co_u32 v2, vcc_lo, v5, v0
	s_wait_alu depctr_va_vcc(0)
	v_add_co_ci_u32_e64 v3, null, v22, v1, vcc_lo
	.loc	1 94 49                         ; attention_bwd.py:94:49 @[ attention_bwd.py:240:70 ]
	v_add_co_u32 v0, vcc_lo, v23, v0
	s_wait_alu depctr_va_vcc(0)
	v_add_co_ci_u32_e64 v1, null, v24, v1, vcc_lo
	s_clause 0x1                            ; 16-byte Folded Spill
	scratch_store_b64 off, v[2:3], off offset:144
	scratch_store_b64 off, v[0:1], off offset:128
.Ltmp137:
	.loc	1 204 50                        ; attention_bwd.py:204:50
	v_add_co_u32 v0, vcc_lo, v20, v168
	s_wait_alu depctr_va_vcc(0)
	v_add_co_ci_u32_e64 v1, null, v21, v169, vcc_lo
	.loc	1 205 22                        ; attention_bwd.py:205:22
	global_store_b16 v[0:1], v159, off
	.loc	1 204 50                        ; attention_bwd.py:204:50
	v_add_co_u32 v0, vcc_lo, v20, v29
	s_wait_alu depctr_va_vcc(0)
	v_add_co_ci_u32_e64 v1, null, v21, v30, vcc_lo
	.loc	1 205 22                        ; attention_bwd.py:205:22
	global_store_b16 v[0:1], v158, off
	scratch_load_b64 v[0:1], off, off offset:1536 th:TH_LOAD_LU ; 8-byte Folded Reload
.Ltmp138:
	.loc	1 93 49                         ; attention_bwd.py:93:49 @[ attention_bwd.py:240:70 ]
	s_wait_loadcnt 0x0
	v_add_co_u32 v2, vcc_lo, v5, v0
	s_wait_alu depctr_va_vcc(0)
	v_add_co_ci_u32_e64 v3, null, v22, v1, vcc_lo
	.loc	1 94 49                         ; attention_bwd.py:94:49 @[ attention_bwd.py:240:70 ]
	v_add_co_u32 v0, vcc_lo, v23, v0
	s_wait_alu depctr_va_vcc(0)
	v_add_co_ci_u32_e64 v1, null, v24, v1, vcc_lo
	s_clause 0x1                            ; 16-byte Folded Spill
	scratch_store_b64 off, v[2:3], off offset:192
	scratch_store_b64 off, v[0:1], off offset:160
	scratch_load_b64 v[0:1], off, off offset:1544 th:TH_LOAD_LU ; 8-byte Folded Reload
	.loc	1 93 49                         ; attention_bwd.py:93:49 @[ attention_bwd.py:240:70 ]
	s_wait_loadcnt 0x0
	v_add_co_u32 v2, vcc_lo, v5, v0
	s_wait_alu depctr_va_vcc(0)
	v_add_co_ci_u32_e64 v3, null, v22, v1, vcc_lo
	.loc	1 94 49                         ; attention_bwd.py:94:49 @[ attention_bwd.py:240:70 ]
	v_add_co_u32 v0, vcc_lo, v23, v0
	s_wait_alu depctr_va_vcc(0)
	v_add_co_ci_u32_e64 v1, null, v24, v1, vcc_lo
	s_clause 0x1                            ; 16-byte Folded Spill
	scratch_store_b64 off, v[2:3], off offset:224
	scratch_store_b64 off, v[0:1], off offset:176
	scratch_load_b64 v[0:1], off, off offset:1552 th:TH_LOAD_LU ; 8-byte Folded Reload
	.loc	1 93 49                         ; attention_bwd.py:93:49 @[ attention_bwd.py:240:70 ]
	s_wait_loadcnt 0x0
	v_add_co_u32 v2, vcc_lo, v5, v0
	s_wait_alu depctr_va_vcc(0)
	v_add_co_ci_u32_e64 v3, null, v22, v1, vcc_lo
	.loc	1 94 49                         ; attention_bwd.py:94:49 @[ attention_bwd.py:240:70 ]
	v_add_co_u32 v0, vcc_lo, v23, v0
	s_wait_alu depctr_va_vcc(0)
	v_add_co_ci_u32_e64 v1, null, v24, v1, vcc_lo
	s_clause 0x1                            ; 16-byte Folded Spill
	scratch_store_b64 off, v[2:3], off offset:240
	scratch_store_b64 off, v[0:1], off offset:208
.Ltmp139:
	.loc	1 204 50                        ; attention_bwd.py:204:50
	v_add_co_u32 v0, vcc_lo, v20, v170
	s_wait_alu depctr_va_vcc(0)
	v_add_co_ci_u32_e64 v1, null, v21, v171, vcc_lo
	.loc	1 205 22                        ; attention_bwd.py:205:22
	global_store_b16 v[0:1], v91, off
	.loc	1 204 50                        ; attention_bwd.py:204:50
	v_add_co_u32 v0, vcc_lo, v20, v172
	s_wait_alu depctr_va_vcc(0)
	v_add_co_ci_u32_e64 v1, null, v21, v173, vcc_lo
	.loc	1 205 22                        ; attention_bwd.py:205:22
	global_store_b16 v[0:1], v90, off
	.loc	1 204 50                        ; attention_bwd.py:204:50
	v_add_co_u32 v0, vcc_lo, v20, v174
	s_wait_alu depctr_va_vcc(0)
	v_add_co_ci_u32_e64 v1, null, v21, v175, vcc_lo
	v_add_co_u32 v2, vcc_lo, v20, v176
	s_wait_alu depctr_va_vcc(0)
	v_add_co_ci_u32_e64 v3, null, v21, v177, vcc_lo
	.loc	1 205 22                        ; attention_bwd.py:205:22
	global_store_b16 v[0:1], v89, off
	.loc	1 204 50                        ; attention_bwd.py:204:50
	v_add_co_u32 v0, vcc_lo, v20, v178
	s_wait_alu depctr_va_vcc(0)
	v_add_co_ci_u32_e64 v1, null, v21, v179, vcc_lo
	.loc	1 205 22                        ; attention_bwd.py:205:22
	global_store_b16 v[2:3], v88, off
	.loc	1 204 50                        ; attention_bwd.py:204:50
	v_add_co_u32 v2, vcc_lo, v20, v180
	s_wait_alu depctr_va_vcc(0)
	v_add_co_ci_u32_e64 v3, null, v21, v181, vcc_lo
	;; [unrolled: 15-line block ×7, first 2 shown]
	v_add_co_u32 v38, vcc_lo, v20, v202
	s_wait_alu depctr_va_vcc(0)
	v_add_co_ci_u32_e64 v39, null, v21, v203, vcc_lo
	.loc	1 209 19                        ; attention_bwd.py:209:19
	s_wait_alu depctr_sa_sdst(0)
	v_add_co_u32 v20, vcc_lo, s0, v215
	s_wait_alu depctr_va_vcc(0)
	v_add_co_ci_u32_e64 v21, null, s1, v216, vcc_lo
	.loc	1 205 22                        ; attention_bwd.py:205:22
	global_store_b16 v[6:7], v71, off
	.loc	1 209 50                        ; attention_bwd.py:209:50
	v_add_co_u32 v6, vcc_lo, v20, v92
	s_wait_alu depctr_va_vcc(0)
	v_add_co_ci_u32_e64 v7, null, v21, v93, vcc_lo
	.loc	1 205 22                        ; attention_bwd.py:205:22
	global_store_b16 v[34:35], v70, off
	.loc	1 209 50                        ; attention_bwd.py:209:50
	v_add_co_u32 v34, vcc_lo, v20, v94
	s_wait_alu depctr_va_vcc(0)
	v_add_co_ci_u32_e64 v35, null, v21, v95, vcc_lo
	v_add_co_u32 v47, vcc_lo, v20, v96
	s_wait_alu depctr_va_vcc(0)
	v_add_co_ci_u32_e64 v48, null, v21, v97, vcc_lo
	.loc	1 205 22                        ; attention_bwd.py:205:22
	global_store_b16 v[4:5], v69, off
	.loc	1 209 50                        ; attention_bwd.py:209:50
	v_add_co_u32 v4, vcc_lo, v20, v98
	s_wait_alu depctr_va_vcc(0)
	v_add_co_ci_u32_e64 v5, null, v21, v99, vcc_lo
	.loc	1 205 22                        ; attention_bwd.py:205:22
	global_store_b16 v[0:1], v68, off
	.loc	1 209 50                        ; attention_bwd.py:209:50
	v_add_co_u32 v0, vcc_lo, v20, v164
	s_wait_alu depctr_va_vcc(0)
	v_add_co_ci_u32_e64 v1, null, v21, v165, vcc_lo
	;; [unrolled: 15-line block ×10, first 2 shown]
	v_add_co_u32 v65, vcc_lo, v20, v200
	s_wait_alu depctr_va_vcc(0)
	v_add_co_ci_u32_e64 v66, null, v21, v201, vcc_lo
	.loc	1 210 22                        ; attention_bwd.py:210:22
	global_store_b16 v[6:7], v134, off
	.loc	1 209 50                        ; attention_bwd.py:209:50
	v_add_co_u32 v6, vcc_lo, v20, v204
	s_wait_alu depctr_va_vcc(0)
	v_add_co_ci_u32_e64 v7, null, v21, v205, vcc_lo
	v_add_co_u32 v67, vcc_lo, v20, v202
	s_wait_alu depctr_va_vcc(0)
	v_add_co_ci_u32_e64 v68, null, v21, v203, vcc_lo
	.loc	1 209 19 is_stmt 0              ; attention_bwd.py:209:19
	v_add_co_u32 v20, vcc_lo, s0, v108
	s_wait_alu depctr_va_vcc(0)
	v_add_co_ci_u32_e64 v21, null, s1, v109, vcc_lo
	.loc	1 210 22 is_stmt 1              ; attention_bwd.py:210:22
	global_store_b16 v[34:35], v133, off
	.loc	1 209 50                        ; attention_bwd.py:209:50
	v_add_co_u32 v34, vcc_lo, v20, v92
	s_wait_alu depctr_va_vcc(0)
	v_add_co_ci_u32_e64 v35, null, v21, v93, vcc_lo
	.loc	1 210 22                        ; attention_bwd.py:210:22
	global_store_b16 v[55:56], v132, off
	.loc	1 209 50                        ; attention_bwd.py:209:50
	v_add_co_u32 v55, vcc_lo, v20, v94
	s_wait_alu depctr_va_vcc(0)
	v_add_co_ci_u32_e64 v56, null, v21, v95, vcc_lo
	.loc	1 210 22                        ; attention_bwd.py:210:22
	global_store_b16 v[47:48], v131, off
	.loc	1 209 50                        ; attention_bwd.py:209:50
	v_add_co_u32 v47, vcc_lo, v20, v96
	s_wait_alu depctr_va_vcc(0)
	v_add_co_ci_u32_e64 v48, null, v21, v97, vcc_lo
	v_add_co_u32 v69, vcc_lo, v20, v98
	s_wait_alu depctr_va_vcc(0)
	v_add_co_ci_u32_e64 v70, null, v21, v99, vcc_lo
	.loc	1 210 22                        ; attention_bwd.py:210:22
	global_store_b16 v[4:5], v130, off
	.loc	1 209 50                        ; attention_bwd.py:209:50
	v_add_co_u32 v4, vcc_lo, v20, v164
	s_wait_alu depctr_va_vcc(0)
	v_add_co_ci_u32_e64 v5, null, v21, v165, vcc_lo
	.loc	1 210 22                        ; attention_bwd.py:210:22
	global_store_b16 v[57:58], v129, off
	.loc	1 209 50                        ; attention_bwd.py:209:50
	v_add_co_u32 v57, vcc_lo, v20, v166
	s_wait_alu depctr_va_vcc(0)
	v_add_co_ci_u32_e64 v58, null, v21, v167, vcc_lo
	v_add_co_u32 v71, vcc_lo, v20, v25
	s_wait_alu depctr_va_vcc(0)
	v_add_co_ci_u32_e64 v72, null, v21, v26, vcc_lo
	.loc	1 210 22                        ; attention_bwd.py:210:22
	global_store_b16 v[0:1], v128, off
	.loc	1 209 50                        ; attention_bwd.py:209:50
	v_add_co_u32 v0, vcc_lo, v20, v27
	s_wait_alu depctr_va_vcc(0)
	v_add_co_ci_u32_e64 v1, null, v21, v28, vcc_lo
	v_add_co_u32 v73, vcc_lo, v20, v168
	s_wait_alu depctr_va_vcc(0)
	v_add_co_ci_u32_e64 v74, null, v21, v169, vcc_lo
	v_add_co_u32 v78, vcc_lo, v20, v29
	.loc	1 210 22                        ; attention_bwd.py:210:22
	global_store_b16 v[49:50], v127, off
	.loc	1 209 50                        ; attention_bwd.py:209:50
	s_wait_alu depctr_va_vcc(0)
	v_add_co_ci_u32_e64 v79, null, v21, v30, vcc_lo
	.loc	1 210 22                        ; attention_bwd.py:210:22
	global_store_b16 v[59:60], v126, off
	.loc	1 209 50                        ; attention_bwd.py:209:50
	v_add_co_u32 v59, vcc_lo, v20, v170
	s_wait_alu depctr_va_vcc(0)
	v_add_co_ci_u32_e64 v60, null, v21, v171, vcc_lo
	v_add_co_u32 v86, vcc_lo, v20, v172
	s_wait_alu depctr_va_vcc(0)
	v_add_co_ci_u32_e64 v87, null, v21, v173, vcc_lo
	;; [unrolled: 3-line block ×6, first 2 shown]
	v_add_co_u32 v101, vcc_lo, v20, v182
	.loc	1 210 22                        ; attention_bwd.py:210:22
	s_clause 0x3
	global_store_b16 v[36:37], v125, off
	global_store_b16 v[32:33], v124, off
	;; [unrolled: 1-line block ×4, first 2 shown]
	.loc	1 209 50                        ; attention_bwd.py:209:50
	s_wait_alu depctr_va_vcc(0)
	v_add_co_ci_u32_e64 v102, null, v21, v183, vcc_lo
	.loc	1 210 22                        ; attention_bwd.py:210:22
	global_store_b16 v[2:3], v121, off
	.loc	1 209 50                        ; attention_bwd.py:209:50
	v_add_co_u32 v2, vcc_lo, v20, v184
	s_wait_alu depctr_va_vcc(0)
	v_add_co_ci_u32_e64 v3, null, v21, v185, vcc_lo
	v_add_co_u32 v104, vcc_lo, v20, v186
	s_wait_alu depctr_va_vcc(0)
	v_add_co_ci_u32_e64 v105, null, v21, v187, vcc_lo
	v_add_co_u32 v106, vcc_lo, v20, v188
	s_wait_alu depctr_va_vcc(0)
	v_add_co_ci_u32_e64 v107, null, v21, v189, vcc_lo
	v_add_co_u32 v108, vcc_lo, v20, v190
	s_wait_alu depctr_va_vcc(0)
	v_add_co_ci_u32_e64 v109, null, v21, v191, vcc_lo
	v_add_co_u32 v118, vcc_lo, v20, v194
	.loc	1 210 22                        ; attention_bwd.py:210:22
	s_clause 0x1
	global_store_b16 v[63:64], v120, off
	global_store_b16 v[38:39], v119, off
	.loc	1 209 50                        ; attention_bwd.py:209:50
	s_wait_alu depctr_va_vcc(0)
	v_add_co_ci_u32_e64 v119, null, v21, v195, vcc_lo
	v_add_co_u32 v116, vcc_lo, v20, v196
	.loc	1 210 22                        ; attention_bwd.py:210:22
	global_store_b16 v[53:54], v117, off
	.loc	1 209 50                        ; attention_bwd.py:209:50
	s_wait_alu depctr_va_vcc(0)
	v_add_co_ci_u32_e64 v117, null, v21, v197, vcc_lo
	v_add_co_u32 v120, vcc_lo, v20, v192
	s_wait_alu depctr_va_vcc(0)
	v_add_co_ci_u32_e64 v121, null, v21, v193, vcc_lo
	v_add_co_u32 v122, vcc_lo, v20, v198
	.loc	1 210 22                        ; attention_bwd.py:210:22
	global_store_b16 v[65:66], v115, off
	.loc	1 209 50                        ; attention_bwd.py:209:50
	s_wait_alu depctr_va_vcc(0)
	v_add_co_ci_u32_e64 v123, null, v21, v199, vcc_lo
	.loc	1 210 22                        ; attention_bwd.py:210:22
	global_store_b16 v[6:7], v114, off
	.loc	1 209 50                        ; attention_bwd.py:209:50
	v_add_co_u32 v6, vcc_lo, v20, v150
	s_wait_alu depctr_va_vcc(0)
	v_add_co_ci_u32_e64 v7, null, v21, v151, vcc_lo
	.loc	1 210 22                        ; attention_bwd.py:210:22
	global_store_b16 v[67:68], v113, off
	.loc	1 209 50                        ; attention_bwd.py:209:50
	v_add_co_u32 v113, vcc_lo, v20, v152
	s_wait_alu depctr_va_vcc(0)
	v_add_co_ci_u32_e64 v114, null, v21, v153, vcc_lo
	v_add_co_u32 v124, vcc_lo, v20, v148
	s_wait_alu depctr_va_vcc(0)
	v_add_co_ci_u32_e64 v125, null, v21, v149, vcc_lo
	v_add_co_u32 v126, vcc_lo, v20, v154
	s_wait_alu depctr_va_vcc(0)
	v_add_co_ci_u32_e64 v127, null, v21, v155, vcc_lo
	v_add_co_u32 v128, vcc_lo, v20, v200
	s_wait_alu depctr_va_vcc(0)
	v_add_co_ci_u32_e64 v129, null, v21, v201, vcc_lo
	v_add_co_u32 v130, vcc_lo, v20, v204
	s_wait_alu depctr_va_vcc(0)
	v_add_co_ci_u32_e64 v131, null, v21, v205, vcc_lo
	v_add_co_u32 v132, vcc_lo, v20, v202
	.loc	1 220 20                        ; attention_bwd.py:220:20
	s_add_nc_u64 s[0:1], s[26:27], s[92:93]
	.loc	1 209 50                        ; attention_bwd.py:209:50
	s_wait_alu depctr_va_vcc(0)
	v_add_co_ci_u32_e64 v133, null, v21, v203, vcc_lo
	.loc	1 220 51                        ; attention_bwd.py:220:51
	s_wait_alu depctr_sa_sdst(0)
	v_add_co_u32 v32, vcc_lo, s0, v245
	s_wait_alu depctr_va_vcc(0)
	v_add_co_ci_u32_e64 v33, null, s1, v246, vcc_lo
	.loc	1 220 20 is_stmt 0              ; attention_bwd.py:220:20
	s_add_nc_u64 s[0:1], s[26:27], s[90:91]
	.loc	1 210 22 is_stmt 1              ; attention_bwd.py:210:22
	global_store_b16 v[34:35], v112, off
	.loc	1 220 51                        ; attention_bwd.py:220:51
	s_wait_alu depctr_sa_sdst(0)
	v_add_co_u32 v34, vcc_lo, s0, v245
	s_wait_alu depctr_va_vcc(0)
	v_add_co_ci_u32_e64 v35, null, s1, v246, vcc_lo
	.loc	1 220 20 is_stmt 0              ; attention_bwd.py:220:20
	s_add_nc_u64 s[0:1], s[26:27], s[96:97]
	.loc	1 210 22 is_stmt 1              ; attention_bwd.py:210:22
	global_store_b16 v[55:56], v111, off
	;; [unrolled: 9-line block ×3, first 2 shown]
	.loc	1 220 51                        ; attention_bwd.py:220:51
	s_wait_alu depctr_sa_sdst(0)
	v_add_co_u32 v38, vcc_lo, s0, v245
	s_wait_alu depctr_va_vcc(0)
	v_add_co_ci_u32_e64 v39, null, s1, v246, vcc_lo
	.loc	1 220 20 is_stmt 0              ; attention_bwd.py:220:20
	s_add_nc_u64 s[0:1], s[26:27], s[102:103]
	.loc	1 210 22 is_stmt 1              ; attention_bwd.py:210:22
	s_clause 0x2
	global_store_b16 v[69:70], v42, off
	global_store_b16 v[4:5], v41, off
	;; [unrolled: 1-line block ×3, first 2 shown]
	.loc	1 220 51                        ; attention_bwd.py:220:51
	s_wait_alu depctr_sa_sdst(0)
	v_add_co_u32 v40, vcc_lo, s0, v245
	s_wait_alu depctr_va_vcc(0)
	v_add_co_ci_u32_e64 v41, null, s1, v246, vcc_lo
	.loc	1 220 20 is_stmt 0              ; attention_bwd.py:220:20
	v_readlane_b32 s0, v252, 2
	v_readlane_b32 s1, v252, 3
	.loc	1 210 22 is_stmt 1              ; attention_bwd.py:210:22
	s_clause 0x3
	global_store_b16 v[71:72], v44, off
	global_store_b16 v[0:1], v46, off
	;; [unrolled: 1-line block ×4, first 2 shown]
	.loc	1 220 20                        ; attention_bwd.py:220:20
	s_add_nc_u64 s[0:1], s[26:27], s[0:1]
	.loc	1 210 22                        ; attention_bwd.py:210:22
	global_store_b16 v[59:60], v161, off
	.loc	1 220 51                        ; attention_bwd.py:220:51
	s_wait_alu depctr_sa_sdst(0)
	v_add_co_u32 v42, vcc_lo, s0, v245
	s_wait_alu depctr_va_vcc(0)
	v_add_co_ci_u32_e64 v43, null, s1, v246, vcc_lo
	.loc	1 220 20 is_stmt 0              ; attention_bwd.py:220:20
	v_readlane_b32 s0, v252, 4
	v_readlane_b32 s1, v252, 5
	.loc	1 210 22 is_stmt 1              ; attention_bwd.py:210:22
	s_clause 0x3
	global_store_b16 v[86:87], v160, off
	global_store_b16 v[88:89], v157, off
	;; [unrolled: 1-line block ×4, first 2 shown]
	.loc	1 220 20                        ; attention_bwd.py:220:20
	s_add_nc_u64 s[0:1], s[26:27], s[0:1]
	.loc	1 210 22                        ; attention_bwd.py:210:22
	global_store_b16 v[98:99], v83, off
	.loc	1 220 51                        ; attention_bwd.py:220:51
	s_wait_alu depctr_sa_sdst(0)
	v_add_co_u32 v44, vcc_lo, s0, v245
	s_wait_alu depctr_va_vcc(0)
	v_add_co_ci_u32_e64 v45, null, s1, v246, vcc_lo
	.loc	1 220 20 is_stmt 0              ; attention_bwd.py:220:20
	v_readlane_b32 s0, v252, 6
	v_readlane_b32 s1, v252, 7
	v_writelane_b32 v252, s94, 28
	.loc	1 210 22 is_stmt 1              ; attention_bwd.py:210:22
	s_clause 0x2
	global_store_b16 v[101:102], v77, off
	global_store_b16 v[2:3], v76, off
	;; [unrolled: 1-line block ×3, first 2 shown]
	.loc	1 220 20                        ; attention_bwd.py:220:20
	s_add_nc_u64 s[0:1], s[26:27], s[0:1]
	.loc	1 210 22                        ; attention_bwd.py:210:22
	global_store_b16 v[106:107], v82, off
	.loc	1 220 51                        ; attention_bwd.py:220:51
	s_wait_alu depctr_sa_sdst(0)
	v_add_co_u32 v46, vcc_lo, s0, v245
	s_wait_alu depctr_va_vcc(0)
	v_add_co_ci_u32_e64 v47, null, s1, v246, vcc_lo
	.loc	1 220 20 is_stmt 0              ; attention_bwd.py:220:20
	v_readlane_b32 s0, v253, 6
	v_readlane_b32 s1, v253, 7
	.loc	1 210 22 is_stmt 1              ; attention_bwd.py:210:22
	global_store_b16 v[108:109], v19, off
	.loc	1 220 20                        ; attention_bwd.py:220:20
	v_writelane_b32 v252, s95, 29
	.loc	1 210 22                        ; attention_bwd.py:210:22
	s_clause 0x1
	global_store_b16 v[118:119], v18, off
	global_store_b16 v[116:117], v17, off
	.loc	1 220 20                        ; attention_bwd.py:220:20
	s_add_nc_u64 s[0:1], s[26:27], s[0:1]
	.loc	1 210 22                        ; attention_bwd.py:210:22
	global_store_b16 v[120:121], v16, off
	.loc	1 220 51                        ; attention_bwd.py:220:51
	s_wait_alu depctr_sa_sdst(0)
	v_add_co_u32 v48, vcc_lo, s0, v245
	s_wait_alu depctr_va_vcc(0)
	v_add_co_ci_u32_e64 v49, null, s1, v246, vcc_lo
	.loc	1 220 20 is_stmt 0              ; attention_bwd.py:220:20
	v_readlane_b32 s0, v253, 8
	v_readlane_b32 s1, v253, 9
	.loc	1 210 22 is_stmt 1              ; attention_bwd.py:210:22
	s_clause 0x2
	global_store_b16 v[122:123], v15, off
	global_store_b16 v[6:7], v14, off
	;; [unrolled: 1-line block ×3, first 2 shown]
	v_readlane_b32 s36, v252, 0
	.loc	1 220 20                        ; attention_bwd.py:220:20
	s_add_nc_u64 s[0:1], s[26:27], s[0:1]
	v_readlane_b32 s37, v252, 1
	.loc	1 220 51 is_stmt 0              ; attention_bwd.py:220:51
	s_wait_alu depctr_sa_sdst(0)
	v_add_co_u32 v50, vcc_lo, s0, v245
	s_wait_alu depctr_va_vcc(0)
	v_add_co_ci_u32_e64 v51, null, s1, v246, vcc_lo
	.loc	1 220 20                        ; attention_bwd.py:220:20
	v_readlane_b32 s0, v253, 10
	v_readlane_b32 s1, v253, 11
	;; [unrolled: 1-line block ×4, first 2 shown]
	.loc	1 210 22 is_stmt 1              ; attention_bwd.py:210:22
	s_clause 0x1
	global_store_b16 v[124:125], v12, off
	global_store_b16 v[126:127], v11, off
	.loc	1 220 20                        ; attention_bwd.py:220:20
	s_add_nc_u64 s[0:1], s[26:27], s[0:1]
	.loc	1 210 22                        ; attention_bwd.py:210:22
	global_store_b16 v[128:129], v10, off
	.loc	1 220 51                        ; attention_bwd.py:220:51
	s_wait_alu depctr_sa_sdst(0)
	v_add_co_u32 v52, vcc_lo, s0, v245
	s_wait_alu depctr_va_vcc(0)
	v_add_co_ci_u32_e64 v53, null, s1, v246, vcc_lo
	.loc	1 220 20 is_stmt 0              ; attention_bwd.py:220:20
	v_readlane_b32 s0, v253, 12
	v_readlane_b32 s1, v253, 13
	.loc	1 210 22 is_stmt 1              ; attention_bwd.py:210:22
	global_store_b16 v[130:131], v9, off
	v_readlane_b32 s90, v254, 11
	v_readlane_b32 s91, v254, 12
	v_readlane_b32 s92, v254, 13
	.loc	1 220 20                        ; attention_bwd.py:220:20
	s_add_nc_u64 s[0:1], s[26:27], s[0:1]
	v_readlane_b32 s93, v254, 14
	.loc	1 220 51 is_stmt 0              ; attention_bwd.py:220:51
	s_wait_alu depctr_sa_sdst(0)
	v_add_co_u32 v54, vcc_lo, s0, v245
	s_wait_alu depctr_va_vcc(0)
	v_add_co_ci_u32_e64 v55, null, s1, v246, vcc_lo
	.loc	1 220 20                        ; attention_bwd.py:220:20
	v_readlane_b32 s0, v253, 14
	v_readlane_b32 s1, v253, 15
	;; [unrolled: 1-line block ×6, first 2 shown]
	s_add_nc_u64 s[0:1], s[26:27], s[0:1]
	.loc	1 210 22 is_stmt 1              ; attention_bwd.py:210:22
	global_store_b16 v[132:133], v8, off
	.loc	1 220 51                        ; attention_bwd.py:220:51
	s_wait_alu depctr_sa_sdst(0)
	v_add_co_u32 v56, vcc_lo, s0, v245
	s_wait_alu depctr_va_vcc(0)
	v_add_co_ci_u32_e64 v57, null, s1, v246, vcc_lo
	.loc	1 220 20 is_stmt 0              ; attention_bwd.py:220:20
	s_add_nc_u64 s[0:1], s[26:27], s[94:95]
	v_readlane_b32 s94, v254, 9
	.loc	1 220 51                        ; attention_bwd.py:220:51
	s_wait_alu depctr_sa_sdst(0)
	v_add_co_u32 v58, vcc_lo, s0, v245
	s_wait_alu depctr_va_vcc(0)
	v_add_co_ci_u32_e64 v59, null, s1, v246, vcc_lo
	.loc	1 220 20                        ; attention_bwd.py:220:20
	v_readlane_b32 s0, v253, 16
	v_readlane_b32 s1, v253, 17
	;; [unrolled: 1-line block ×3, first 2 shown]
	v_dual_mov_b32 v0, v245 :: v_dual_mov_b32 v1, v246
	s_add_nc_u64 s[0:1], s[26:27], s[0:1]
	.loc	1 220 51                        ; attention_bwd.py:220:51
	s_wait_alu depctr_sa_sdst(0)
	v_add_co_u32 v60, vcc_lo, s0, v245
	s_wait_alu depctr_va_vcc(0)
	v_add_co_ci_u32_e64 v61, null, s1, v246, vcc_lo
	.loc	1 220 20                        ; attention_bwd.py:220:20
	v_readlane_b32 s0, v253, 18
	v_readlane_b32 s1, v253, 19
	s_add_nc_u64 s[0:1], s[26:27], s[0:1]
	.loc	1 220 51                        ; attention_bwd.py:220:51
	s_wait_alu depctr_sa_sdst(0)
	v_add_co_u32 v62, vcc_lo, s0, v245
	s_wait_alu depctr_va_vcc(0)
	v_add_co_ci_u32_e64 v63, null, s1, v246, vcc_lo
	.loc	1 220 20                        ; attention_bwd.py:220:20
	v_readlane_b32 s0, v253, 20
	v_readlane_b32 s1, v253, 21
	;; [unrolled: 9-line block ×3, first 2 shown]
	s_add_nc_u64 s[0:1], s[26:27], s[0:1]
	.loc	1 220 51                        ; attention_bwd.py:220:51
	s_wait_alu depctr_sa_sdst(0)
	v_add_co_u32 v66, vcc_lo, s0, v245
	s_wait_alu depctr_va_vcc(0)
	v_add_co_ci_u32_e64 v67, null, s1, v246, vcc_lo
	.loc	1 220 20                        ; attention_bwd.py:220:20
	s_add_nc_u64 s[0:1], s[26:27], s[84:85]
	.loc	1 220 51                        ; attention_bwd.py:220:51
	s_wait_alu depctr_sa_sdst(0)
	v_add_co_u32 v68, vcc_lo, s0, v245
	s_wait_alu depctr_va_vcc(0)
	v_add_co_ci_u32_e64 v69, null, s1, v246, vcc_lo
	.loc	1 220 20                        ; attention_bwd.py:220:20
	;; [unrolled: 7-line block ×20, first 2 shown]
	s_add_nc_u64 s[0:1], s[26:27], s[52:53]
	.loc	1 222 22 is_stmt 1              ; attention_bwd.py:222:22
	s_add_nc_u64 s[52:53], s[2:3], s[52:53]
	.loc	1 220 51                        ; attention_bwd.py:220:51
	s_wait_alu depctr_sa_sdst(0)
	v_add_co_u32 v106, vcc_lo, s0, v245
	s_wait_alu depctr_va_vcc(0)
	v_add_co_ci_u32_e64 v107, null, s1, v246, vcc_lo
	.loc	1 220 20 is_stmt 0              ; attention_bwd.py:220:20
	s_add_nc_u64 s[0:1], s[26:27], s[54:55]
	.loc	1 222 22 is_stmt 1              ; attention_bwd.py:222:22
	s_add_nc_u64 s[54:55], s[2:3], s[54:55]
	.loc	1 220 51                        ; attention_bwd.py:220:51
	s_wait_alu depctr_sa_sdst(0)
	v_add_co_u32 v108, vcc_lo, s0, v245
	s_wait_alu depctr_va_vcc(0)
	v_add_co_ci_u32_e64 v109, null, s1, v246, vcc_lo
	.loc	1 220 20 is_stmt 0              ; attention_bwd.py:220:20
	;; [unrolled: 9-line block ×3, first 2 shown]
	s_add_nc_u64 s[0:1], s[26:27], s[42:43]
	.loc	1 220 51                        ; attention_bwd.py:220:51
	s_wait_alu depctr_sa_sdst(0)
	v_add_co_u32 v112, vcc_lo, s0, v245
	s_wait_alu depctr_va_vcc(0)
	v_add_co_ci_u32_e64 v113, null, s1, v246, vcc_lo
	.loc	1 220 20                        ; attention_bwd.py:220:20
	s_add_nc_u64 s[0:1], s[26:27], s[80:81]
	.loc	1 220 51                        ; attention_bwd.py:220:51
	s_wait_alu depctr_sa_sdst(0)
	v_add_co_u32 v114, vcc_lo, s0, v245
	s_wait_alu depctr_va_vcc(0)
	v_add_co_ci_u32_e64 v115, null, s1, v246, vcc_lo
	.loc	1 220 20                        ; attention_bwd.py:220:20
	;; [unrolled: 7-line block ×17, first 2 shown]
	s_add_nc_u64 s[0:1], s[26:27], s[12:13]
	.loc	1 222 22 is_stmt 1              ; attention_bwd.py:222:22
	s_add_nc_u64 s[12:13], s[2:3], s[12:13]
	.loc	1 220 51                        ; attention_bwd.py:220:51
	s_wait_alu depctr_sa_sdst(0)
	v_add_co_u32 v22, vcc_lo, s0, v245
	s_wait_alu depctr_va_vcc(0)
	v_add_co_ci_u32_e64 v23, null, s1, v246, vcc_lo
	.loc	1 220 20 is_stmt 0              ; attention_bwd.py:220:20
	s_add_nc_u64 s[0:1], s[26:27], s[14:15]
	.loc	1 222 22 is_stmt 1              ; attention_bwd.py:222:22
	s_add_nc_u64 s[14:15], s[2:3], s[14:15]
	.loc	1 220 51                        ; attention_bwd.py:220:51
	s_wait_alu depctr_sa_sdst(0)
	v_add_co_u32 v150, vcc_lo, s0, v245
	s_wait_alu depctr_va_vcc(0)
	v_add_co_ci_u32_e64 v151, null, s1, v246, vcc_lo
	.loc	1 220 20 is_stmt 0              ; attention_bwd.py:220:20
	s_add_nc_u64 s[0:1], s[26:27], s[18:19]
	.loc	1 220 51                        ; attention_bwd.py:220:51
	s_wait_alu depctr_sa_sdst(0)
	v_add_co_u32 v156, vcc_lo, s0, v245
	s_wait_alu depctr_va_vcc(0)
	v_add_co_ci_u32_e64 v157, null, s1, v246, vcc_lo
	.loc	1 220 20                        ; attention_bwd.py:220:20
	s_add_nc_u64 s[0:1], s[26:27], s[10:11]
	.loc	1 220 51                        ; attention_bwd.py:220:51
	s_wait_alu depctr_sa_sdst(0)
	v_add_co_u32 v164, vcc_lo, s0, v245
	s_wait_alu depctr_va_vcc(0)
	v_add_co_ci_u32_e64 v165, null, s1, v246, vcc_lo
	.loc	1 220 20                        ; attention_bwd.py:220:20
	;; [unrolled: 7-line block ×3, first 2 shown]
	s_add_nc_u64 s[0:1], s[26:27], s[4:5]
	.loc	1 222 22 is_stmt 1              ; attention_bwd.py:222:22
	s_add_nc_u64 s[4:5], s[2:3], s[4:5]
	.loc	1 220 51                        ; attention_bwd.py:220:51
	s_wait_alu depctr_sa_sdst(0)
	v_add_co_u32 v172, vcc_lo, s0, v245
	s_wait_alu depctr_va_vcc(0)
	v_add_co_ci_u32_e64 v173, null, s1, v246, vcc_lo
	.loc	1 220 20 is_stmt 0              ; attention_bwd.py:220:20
	s_add_nc_u64 s[0:1], s[26:27], s[6:7]
	.loc	1 222 22 is_stmt 1              ; attention_bwd.py:222:22
	s_add_nc_u64 s[26:27], s[2:3], s[22:23]
	.loc	1 220 51                        ; attention_bwd.py:220:51
	s_wait_alu depctr_sa_sdst(0)
	v_add_co_u32 v174, vcc_lo, s0, v245
	s_wait_alu depctr_va_vcc(0)
	v_add_co_ci_u32_e64 v175, null, s1, v246, vcc_lo
	.loc	1 222 22                        ; attention_bwd.py:222:22
	v_readlane_b32 s0, v253, 6
	v_readlane_b32 s1, v253, 7
	.loc	1 220 16                        ; attention_bwd.py:220:16
	s_clause 0x1f
	global_load_u16 v32, v[32:33], off
	global_load_u16 v33, v[40:41], off
	;; [unrolled: 1-line block ×32, first 2 shown]
	s_clause 0x1f
	global_load_u16 v64, v[96:97], off
	global_load_u16 v65, v[104:105], off
	;; [unrolled: 1-line block ×32, first 2 shown]
	v_dual_mov_b32 v100, v228 :: v_dual_mov_b32 v101, v231
	.loc	1 222 22                        ; attention_bwd.py:222:22
	s_add_nc_u64 s[0:1], s[2:3], s[0:1]
	.loc	1 222 53 is_stmt 0              ; attention_bwd.py:222:53
	s_wait_alu depctr_sa_sdst(0)
	v_add_co_u32 v120, vcc_lo, s0, v245
	s_wait_alu depctr_va_vcc(0)
	v_add_co_ci_u32_e64 v121, null, s1, v246, vcc_lo
	.loc	1 222 22                        ; attention_bwd.py:222:22
	v_readlane_b32 s0, v253, 8
	v_readlane_b32 s1, v253, 9
	s_add_nc_u64 s[0:1], s[2:3], s[0:1]
	.loc	1 222 53                        ; attention_bwd.py:222:53
	s_wait_alu depctr_sa_sdst(0)
	v_add_co_u32 v124, vcc_lo, s0, v245
	s_wait_alu depctr_va_vcc(0)
	v_add_co_ci_u32_e64 v125, null, s1, v246, vcc_lo
	.loc	1 222 22                        ; attention_bwd.py:222:22
	v_readlane_b32 s0, v253, 10
	v_readlane_b32 s1, v253, 11
	s_add_nc_u64 s[0:1], s[2:3], s[0:1]
	.loc	1 222 53                        ; attention_bwd.py:222:53
	;; [unrolled: 9-line block ×9, first 2 shown]
	s_wait_alu depctr_sa_sdst(0)
	v_add_co_u32 v224, vcc_lo, s0, v245
	s_wait_alu depctr_va_vcc(0)
	v_add_co_ci_u32_e64 v225, null, s1, v246, vcc_lo
	.loc	1 222 22                        ; attention_bwd.py:222:22
	s_add_nc_u64 s[0:1], s[2:3], s[84:85]
	s_add_nc_u64 s[84:85], s[2:3], s[92:93]
	.loc	1 222 53                        ; attention_bwd.py:222:53
	s_wait_alu depctr_sa_sdst(0)
	v_add_co_u32 v26, vcc_lo, s0, v245
	s_wait_alu depctr_va_vcc(0)
	v_add_co_ci_u32_e64 v27, null, s1, v246, vcc_lo
	.loc	1 222 22                        ; attention_bwd.py:222:22
	s_add_nc_u64 s[0:1], s[2:3], s[82:83]
	s_add_nc_u64 s[82:83], s[2:3], s[90:91]
	.loc	1 222 53                        ; attention_bwd.py:222:53
	;; [unrolled: 8-line block ×16, first 2 shown]
	s_wait_alu depctr_sa_sdst(0)
	v_add_co_u32 v178, vcc_lo, s0, v245
	s_wait_alu depctr_va_vcc(0)
	v_add_co_ci_u32_e64 v179, null, s1, v246, vcc_lo
	v_add_co_u32 v180, vcc_lo, s20, v245
	s_wait_alu depctr_va_vcc(0)
	v_add_co_ci_u32_e64 v181, null, s21, v246, vcc_lo
	;; [unrolled: 3-line block ×16, first 2 shown]
	v_add_co_u32 v212, vcc_lo, s76, v245
	.loc	1 222 22                        ; attention_bwd.py:222:22
	s_add_nc_u64 s[80:81], s[2:3], s[94:95]
	.loc	1 222 53                        ; attention_bwd.py:222:53
	s_wait_alu depctr_va_vcc(0)
	v_add_co_ci_u32_e64 v213, null, s77, v246, vcc_lo
	v_add_co_u32 v20, vcc_lo, s78, v245
	s_wait_alu depctr_va_vcc(0)
	v_add_co_ci_u32_e64 v21, null, s79, v246, vcc_lo
	s_wait_alu depctr_sa_sdst(0)
	v_add_co_u32 v206, vcc_lo, s80, v245
	s_wait_alu depctr_va_vcc(0)
	v_add_co_ci_u32_e64 v207, null, s81, v246, vcc_lo
	v_add_co_u32 v226, vcc_lo, s82, v245
	.loc	1 222 22                        ; attention_bwd.py:222:22
	s_add_nc_u64 s[86:87], s[2:3], s[24:25]
	.loc	1 222 53                        ; attention_bwd.py:222:53
	s_wait_alu depctr_va_vcc(0)
	v_add_co_ci_u32_e64 v227, null, s83, v246, vcc_lo
	v_add_co_u32 v16, vcc_lo, s84, v245
	.loc	1 222 22                        ; attention_bwd.py:222:22
	s_add_nc_u64 s[94:95], s[2:3], s[96:97]
	.loc	1 222 53                        ; attention_bwd.py:222:53
	s_wait_alu depctr_va_vcc(0)
	v_add_co_ci_u32_e64 v17, null, s85, v246, vcc_lo
	s_wait_alu depctr_sa_sdst(0)
	v_add_co_u32 v18, vcc_lo, s86, v245
	s_wait_alu depctr_va_vcc(0)
	v_add_co_ci_u32_e64 v19, null, s87, v246, vcc_lo
	v_add_co_u32 v12, vcc_lo, s94, v245
	s_wait_alu depctr_va_vcc(0)
	v_add_co_ci_u32_e64 v13, null, s95, v246, vcc_lo
	;; [unrolled: 3-line block ×3, first 2 shown]
	v_add_co_u32 v245, vcc_lo, s12, v0
	.loc	1 222 22                        ; attention_bwd.py:222:22
	s_add_nc_u64 s[98:99], s[2:3], s[18:19]
	.loc	1 222 53                        ; attention_bwd.py:222:53
	s_wait_alu depctr_va_vcc(0)
	v_add_co_ci_u32_e64 v246, null, s13, v1, vcc_lo
	v_add_co_u32 v248, vcc_lo, s14, v0
	.loc	1 222 22                        ; attention_bwd.py:222:22
	s_add_nc_u64 s[100:101], s[2:3], s[10:11]
	.loc	1 222 53                        ; attention_bwd.py:222:53
	s_wait_alu depctr_va_vcc(0)
	v_add_co_ci_u32_e64 v249, null, s15, v1, vcc_lo
	s_wait_alu depctr_sa_sdst(0)
	v_add_co_u32 v10, vcc_lo, s98, v0
	.loc	1 222 22                        ; attention_bwd.py:222:22
	s_add_nc_u64 s[102:103], s[2:3], s[8:9]
	.loc	1 222 53                        ; attention_bwd.py:222:53
	s_wait_alu depctr_va_vcc(0)
	v_add_co_ci_u32_e64 v11, null, s99, v1, vcc_lo
	v_add_co_u32 v6, vcc_lo, s100, v0
	s_wait_alu depctr_va_vcc(0)
	v_add_co_ci_u32_e64 v7, null, s101, v1, vcc_lo
	s_wait_alu depctr_sa_sdst(0)
	v_add_co_u32 v8, vcc_lo, s102, v0
	.loc	1 222 22                        ; attention_bwd.py:222:22
	s_add_nc_u64 s[96:97], s[2:3], s[6:7]
	.loc	1 222 53                        ; attention_bwd.py:222:53
	s_wait_alu depctr_va_vcc(0)
	v_add_co_ci_u32_e64 v9, null, s103, v1, vcc_lo
	v_add_co_u32 v4, vcc_lo, s4, v0
	s_wait_alu depctr_va_vcc(0)
	v_add_co_ci_u32_e64 v5, null, s5, v1, vcc_lo
	v_add_co_u32 v2, vcc_lo, s96, v0
	.loc	1 165 23 is_stmt 1              ; attention_bwd.py:165:23
	scratch_load_b32 v0, off, off offset:1608 th:TH_LOAD_LU ; 4-byte Folded Reload
	.loc	1 222 53                        ; attention_bwd.py:222:53
	s_wait_alu depctr_va_vcc(0)
	v_add_co_ci_u32_e64 v3, null, s97, v1, vcc_lo
	v_readlane_b32 s40, v250, 25
	v_readlane_b32 s0, v255, 10
	v_readlane_b32 s1, v255, 11
	v_readlane_b32 s4, v252, 8
	v_readlane_b32 s8, v253, 3
	v_readlane_b32 s6, v252, 10
	v_readlane_b32 s9, v253, 4
	v_readlane_b32 s7, v252, 11
	v_readlane_b32 s10, v253, 5
	v_readlane_b32 s41, v250, 26
	v_readlane_b32 s5, v252, 9
	.loc	1 165 23                        ; attention_bwd.py:165:23
	s_wait_loadcnt 0x0
	s_wait_alu depctr_va_sdst(0)
	v_or_b32_e32 v28, s40, v0
	s_delay_alu instid0(VALU_DEP_1) | instskip(NEXT) | instid1(VALU_DEP_1)
	.loc	1 224 20                        ; attention_bwd.py:224:20
	v_ashrrev_i32_e32 v29, 31, v28
	v_lshlrev_b64_e32 v[28:29], 2, v[28:29]
	s_delay_alu instid0(VALU_DEP_1) | instskip(SKIP_1) | instid1(VALU_DEP_2)
	v_add_co_u32 v0, vcc_lo, s0, v28
	s_wait_alu depctr_va_vcc(0)
	v_add_co_ci_u32_e64 v1, null, s1, v29, vcc_lo
	v_readlane_b32 s0, v255, 12
	v_readlane_b32 s1, v255, 13
.Ltmp140:
	.loc	1 96 21                         ; attention_bwd.py:96:21 @[ attention_bwd.py:240:70 ]
	s_wait_alu depctr_va_sdst(0)
	s_delay_alu instid0(VALU_DEP_2)
	v_add_co_u32 v28, vcc_lo, s0, v28
	.loc	1 105 30                        ; attention_bwd.py:105:30 @[ attention_bwd.py:240:70 ]
	s_lshl1_add_u32 s0, s104, 0
	.loc	1 96 21                         ; attention_bwd.py:96:21 @[ attention_bwd.py:240:70 ]
	s_wait_alu depctr_va_vcc(0)
	v_add_co_ci_u32_e64 v29, null, s1, v29, vcc_lo
.Ltmp141:
	.loc	1 220 16                        ; attention_bwd.py:220:16
	s_mov_b32 s1, 0
	s_wait_storecnt 0x0
	s_barrier_signal -1
	s_barrier_wait -1
	global_inv scope:SCOPE_SE
	scratch_load_b32 v92, off, off offset:1372 th:TH_LOAD_LU ; 4-byte Folded Reload
	s_wait_loadcnt 0x0
	ds_store_b16 v92, v32
	ds_store_b16 v92, v33 offset:1024
	ds_store_b16 v92, v39 offset:2048
	ds_store_b16 v92, v41 offset:3072
	ds_store_b16 v92, v48 offset:4096
	ds_store_b16 v92, v49 offset:5120
	ds_store_b16 v92, v56 offset:6144
	ds_store_b16 v92, v57 offset:7168
	ds_store_b16 v92, v64 offset:8192
	ds_store_b16 v92, v65 offset:9216
	ds_store_b16 v92, v72 offset:10240
	ds_store_b16 v92, v73 offset:11264
	ds_store_b16 v92, v80 offset:12288
	ds_store_b16 v92, v81 offset:13312
	ds_store_b16 v92, v86 offset:14336
	ds_store_b16 v92, v87 offset:15360
	scratch_load_b32 v80, off, off offset:1376 th:TH_LOAD_LU ; 4-byte Folded Reload
	s_wait_loadcnt 0x0
	ds_store_b16 v80, v34 offset:256
	ds_store_b16 v80, v35 offset:1280
	ds_store_b16 v80, v42 offset:2304
	ds_store_b16 v80, v43 offset:3328
	ds_store_b16 v80, v50 offset:4352
	ds_store_b16 v80, v51 offset:5376
	ds_store_b16 v80, v58 offset:6400
	ds_store_b16 v80, v59 offset:7424
	ds_store_b16 v80, v66 offset:8448
	ds_store_b16 v80, v67 offset:9472
	ds_store_b16 v80, v74 offset:10496
	ds_store_b16 v80, v75 offset:11520
	ds_store_b16 v80, v82 offset:12544
	ds_store_b16 v80, v30 offset:13568
	ds_store_b16 v80, v22 offset:14592
	ds_store_b16 v80, v23 offset:15616
	scratch_load_b32 v75, off, off offset:1380 th:TH_LOAD_LU ; 4-byte Folded Reload
	s_wait_loadcnt 0x0
	ds_store_b16 v75, v36 offset:512
	;; [unrolled: 18-line block ×3, first 2 shown]
	ds_store_b16 v76, v40 offset:1792
	ds_store_b16 v76, v47 offset:2816
	;; [unrolled: 1-line block ×15, first 2 shown]
	s_wait_dscnt 0x0
	s_barrier_signal -1
	s_barrier_wait -1
	global_inv scope:SCOPE_SE
	.loc	1 222 17                        ; attention_bwd.py:222:17
	scratch_load_b64 v[22:23], off, off offset:1388 th:TH_LOAD_LU ; 8-byte Folded Reload
	s_clause 0x2
	global_load_u16 v4, v[4:5], off
	global_load_u16 v2, v[2:3], off
	;; [unrolled: 1-line block ×3, first 2 shown]
	s_clause 0x2                            ; 12-byte Folded Reload
	scratch_load_b32 v5, off, off offset:1452 th:TH_LOAD_LU
	scratch_load_b32 v10, off, off offset:1456 th:TH_LOAD_LU
	;; [unrolled: 1-line block ×3, first 2 shown]
	s_wait_loadcnt 0x6
	global_load_u16 v22, v[22:23], off
	scratch_load_b64 v[30:31], off, off offset:1420 th:TH_LOAD_LU ; 8-byte Folded Reload
	s_wait_loadcnt 0x0
	global_load_u16 v23, v[30:31], off
	scratch_load_b64 v[30:31], off, off offset:1396 th:TH_LOAD_LU ; 8-byte Folded Reload
	;; [unrolled: 3-line block ×7, first 2 shown]
	s_wait_loadcnt 0x0
	s_clause 0x1f
	global_load_u16 v35, v[35:36], off
	global_load_u16 v36, v[120:121], off
	;; [unrolled: 1-line block ×32, first 2 shown]
	s_clause 0x15
	global_load_u16 v63, v[176:177], off
	global_load_u16 v64, v[194:195], off
	;; [unrolled: 1-line block ×22, first 2 shown]
	scratch_load_b32 v15, off, off offset:1464 th:TH_LOAD_LU ; 4-byte Folded Reload
	.loc	1 220 16                        ; attention_bwd.py:220:16
	ds_load_b128 v[124:127], v5
	ds_load_b128 v[103:106], v5 offset:8192
	ds_load_b128 v[235:238], v10
	ds_load_b128 v[220:223], v10 offset:8192
	s_wait_loadcnt 0x0
	ds_load_b128 v[116:119], v15
	ds_load_b128 v[120:123], v15 offset:8192
	ds_load_b128 v[108:111], v11
	ds_load_b128 v[112:115], v11 offset:8192
	.loc	1 222 17                        ; attention_bwd.py:222:17
	s_wait_dscnt 0x0
	s_barrier_signal -1
	s_barrier_wait -1
	global_inv scope:SCOPE_SE
	ds_store_b16 v92, v22
	ds_store_b16 v92, v23 offset:1024
	ds_store_b16 v92, v36 offset:2048
	;; [unrolled: 1-line block ×63, first 2 shown]
	s_wait_loadcnt_dscnt 0x0
	s_barrier_signal -1
	s_barrier_wait -1
	global_inv scope:SCOPE_SE
.Ltmp142:
	.loc	1 105 30                        ; attention_bwd.py:105:30 @[ attention_bwd.py:240:70 ]
	global_load_b32 v0, v[0:1], off
.Ltmp143:
	.loc	1 222 17                        ; attention_bwd.py:222:17
	ds_load_b128 v[212:215], v5
	ds_load_b128 v[204:207], v5 offset:8192
	ds_load_b128 v[239:242], v10
	ds_load_b128 v[225:228], v10 offset:8192
	;; [unrolled: 2-line block ×4, first 2 shown]
.Ltmp144:
	.loc	1 105 30                        ; attention_bwd.py:105:30 @[ attention_bwd.py:240:70 ]
	s_wait_loadcnt_dscnt 0x0
	s_barrier_signal -1
	scratch_load_b32 v1, off, off offset:1528 th:TH_LOAD_LU ; 4-byte Folded Reload
	s_barrier_wait -1
	s_wait_loadcnt 0x0
	global_inv scope:SCOPE_SE
	v_add_nc_u32_e32 v1, v244, v1
	ds_store_b32 v1, v0
	s_wait_loadcnt_dscnt 0x0
	s_barrier_signal -1
	s_barrier_wait -1
	global_inv scope:SCOPE_SE
	scratch_load_b32 v2, off, off offset:1368 th:TH_LOAD_LU ; 4-byte Folded Reload
	.loc	1 113 23                        ; attention_bwd.py:113:23 @[ attention_bwd.py:240:70 ]
	global_load_b32 v0, v[28:29], off
	.loc	1 105 30                        ; attention_bwd.py:105:30 @[ attention_bwd.py:240:70 ]
	s_wait_loadcnt 0x1
	s_wait_alu depctr_sa_sdst(0)
	v_lshl_add_u32 v2, v2, 2, s0
	ds_load_2addr_stride64_b32 v[231:232], v2 offset1:1
	.loc	1 113 23                        ; attention_bwd.py:113:23 @[ attention_bwd.py:240:70 ]
	s_wait_loadcnt_dscnt 0x0
	s_barrier_signal -1
	s_barrier_wait -1
	global_inv scope:SCOPE_SE
	ds_store_b32 v1, v0
	s_wait_loadcnt_dscnt 0x0
	s_barrier_signal -1
	s_barrier_wait -1
	global_inv scope:SCOPE_SE
	.loc	1 102 21                        ; attention_bwd.py:102:21 @[ attention_bwd.py:240:70 ]
	scratch_load_b64 v[0:1], off, off th:TH_LOAD_LU ; 8-byte Folded Reload
	s_wait_loadcnt 0x0
	global_load_u16 v0, v[0:1], off
	scratch_load_b64 v[3:4], off, off offset:48 th:TH_LOAD_LU ; 8-byte Folded Reload
	s_wait_loadcnt 0x0
	global_load_u16 v1, v[3:4], off
	scratch_load_b64 v[3:4], off, off offset:80 th:TH_LOAD_LU ; 8-byte Folded Reload
	;; [unrolled: 3-line block ×7, first 2 shown]
	s_wait_loadcnt 0x0
	global_load_u16 v8, v[8:9], off
	.loc	1 103 21                        ; attention_bwd.py:103:21 @[ attention_bwd.py:240:70 ]
	scratch_load_b64 v[9:10], off, off offset:16 th:TH_LOAD_LU ; 8-byte Folded Reload
	s_wait_loadcnt 0x0
	global_load_u16 v9, v[9:10], off
	scratch_load_b64 v[10:11], off, off offset:32 th:TH_LOAD_LU ; 8-byte Folded Reload
	s_wait_loadcnt 0x0
	global_load_u16 v10, v[10:11], off
	scratch_load_b64 v[11:12], off, off offset:64 th:TH_LOAD_LU ; 8-byte Folded Reload
	s_wait_loadcnt 0x0
	global_load_u16 v11, v[11:12], off
	scratch_load_b64 v[12:13], off, off offset:96 th:TH_LOAD_LU ; 8-byte Folded Reload
	s_wait_loadcnt 0x0
	global_load_u16 v12, v[12:13], off
	scratch_load_b64 v[13:14], off, off offset:128 th:TH_LOAD_LU ; 8-byte Folded Reload
	s_wait_loadcnt 0x0
	global_load_u16 v13, v[13:14], off
	scratch_load_b64 v[14:15], off, off offset:160 th:TH_LOAD_LU ; 8-byte Folded Reload
	s_wait_loadcnt 0x0
	global_load_u16 v14, v[14:15], off
	scratch_load_b64 v[15:16], off, off offset:176 th:TH_LOAD_LU ; 8-byte Folded Reload
	s_wait_loadcnt 0x0
	global_load_u16 v15, v[15:16], off
	scratch_load_b64 v[16:17], off, off offset:208 th:TH_LOAD_LU ; 8-byte Folded Reload
	.loc	1 113 23                        ; attention_bwd.py:113:23 @[ attention_bwd.py:240:70 ]
	ds_load_2addr_stride64_b32 v[210:211], v2 offset1:1
	.loc	1 103 21                        ; attention_bwd.py:103:21 @[ attention_bwd.py:240:70 ]
	s_wait_loadcnt 0x0
	global_load_u16 v16, v[16:17], off
	.loc	1 102 21                        ; attention_bwd.py:102:21 @[ attention_bwd.py:240:70 ]
	s_wait_loadcnt_dscnt 0x0
	s_barrier_signal -1
	s_barrier_wait -1
	global_inv scope:SCOPE_SE
	ds_store_b16 v244, v0
	ds_store_b16 v244, v1 offset:256
	ds_store_b16 v244, v3 offset:512
	ds_store_b16 v244, v4 offset:768
	ds_store_b16 v244, v5 offset:1024
	ds_store_b16 v244, v6 offset:1280
	ds_store_b16 v244, v7 offset:1536
	ds_store_b16 v244, v8 offset:1792
	.loc	1 103 21                        ; attention_bwd.py:103:21 @[ attention_bwd.py:240:70 ]
	ds_store_b16 v244, v9 offset:2048
	ds_store_b16 v244, v10 offset:2304
	;; [unrolled: 1-line block ×8, first 2 shown]
	s_clause 0x2                            ; 16-byte Folded Reload
	scratch_load_b32 v0, off, off offset:1480 th:TH_LOAD_LU
	scratch_load_b64 v[98:99], off, off offset:1360
	scratch_load_b32 v102, off, off offset:1612
	v_mov_b32_e32 v8, 0
	s_delay_alu instid0(VALU_DEP_1)
	v_dual_mov_b32 v9, v8 :: v_dual_mov_b32 v10, v8
	v_mov_b32_e32 v21, v8
	v_dual_mov_b32 v11, v8 :: v_dual_mov_b32 v12, v8
	v_mov_b32_e32 v23, v8
	;; [unrolled: 2-line block ×5, first 2 shown]
	v_dual_mov_b32 v19, v8 :: v_dual_mov_b32 v20, v8
	v_dual_mov_b32 v31, v8 :: v_dual_mov_b32 v22, v8
	;; [unrolled: 1-line block ×22, first 2 shown]
	v_mov_b32_e32 v2, v8
	v_mov_b32_e32 v4, v8
	;; [unrolled: 1-line block ×3, first 2 shown]
	.loc	1 101 25                        ; attention_bwd.py:101:25 @[ attention_bwd.py:240:70 ]
	s_wait_loadcnt 0x2
	v_add_co_u32 v144, vcc_lo, s6, v0
	v_add_co_u32 v145, s0, s8, v0
	scratch_load_b32 v0, off, off offset:1476 th:TH_LOAD_LU ; 4-byte Folded Reload
	s_wait_loadcnt 0x0
	s_wait_alu depctr_va_sdst(0)
	v_add_co_ci_u32_e64 v146, null, s9, v0, s0
	s_wait_alu depctr_va_vcc(0)
	v_add_co_ci_u32_e64 v147, null, s7, v0, vcc_lo
	scratch_load_b32 v0, off, off offset:1488 th:TH_LOAD_LU ; 4-byte Folded Reload
	s_wait_loadcnt 0x0
	v_add_co_u32 v148, vcc_lo, s6, v0
	v_add_co_u32 v149, s0, s8, v0
	scratch_load_b32 v0, off, off offset:1484 th:TH_LOAD_LU ; 4-byte Folded Reload
	s_wait_loadcnt 0x0
	s_wait_alu depctr_va_sdst(0)
	v_add_co_ci_u32_e64 v150, null, s9, v0, s0
	s_wait_alu depctr_va_vcc(0)
	v_add_co_ci_u32_e64 v151, null, s7, v0, vcc_lo
	scratch_load_b32 v0, off, off offset:1496 th:TH_LOAD_LU ; 4-byte Folded Reload
	s_wait_loadcnt 0x0
	v_add_co_u32 v152, vcc_lo, s6, v0
	v_add_co_u32 v153, s0, s8, v0
	scratch_load_b32 v0, off, off offset:1492 th:TH_LOAD_LU ; 4-byte Folded Reload
	s_wait_loadcnt 0x0
	s_wait_alu depctr_va_sdst(0)
	v_add_co_ci_u32_e64 v154, null, s9, v0, s0
	s_wait_alu depctr_va_vcc(0)
	v_add_co_ci_u32_e64 v155, null, s7, v0, vcc_lo
	scratch_load_b32 v0, off, off offset:1504 th:TH_LOAD_LU ; 4-byte Folded Reload
	s_wait_loadcnt 0x0
	v_add_co_u32 v156, vcc_lo, s6, v0
	v_add_co_u32 v157, s0, s8, v0
	scratch_load_b32 v0, off, off offset:1500 th:TH_LOAD_LU ; 4-byte Folded Reload
	s_wait_loadcnt 0x0
	s_wait_alu depctr_va_sdst(0)
	v_add_co_ci_u32_e64 v158, null, s9, v0, s0
	s_wait_alu depctr_va_vcc(0)
	v_add_co_ci_u32_e64 v159, null, s7, v0, vcc_lo
	scratch_load_b32 v0, off, off offset:1512 th:TH_LOAD_LU ; 4-byte Folded Reload
	s_wait_loadcnt 0x0
	v_add_co_u32 v160, vcc_lo, s6, v0
	v_add_co_u32 v161, s0, s8, v0
	scratch_load_b32 v0, off, off offset:1508 th:TH_LOAD_LU ; 4-byte Folded Reload
	s_wait_loadcnt 0x0
	s_wait_alu depctr_va_sdst(0)
	v_add_co_ci_u32_e64 v162, null, s9, v0, s0
	s_wait_alu depctr_va_vcc(0)
	v_add_co_ci_u32_e64 v163, null, s7, v0, vcc_lo
	scratch_load_b32 v0, off, off offset:1520 th:TH_LOAD_LU ; 4-byte Folded Reload
	s_wait_loadcnt 0x0
	v_add_co_u32 v164, vcc_lo, s6, v0
	v_add_co_u32 v165, s0, s8, v0
	scratch_load_b32 v0, off, off offset:1516 th:TH_LOAD_LU ; 4-byte Folded Reload
	s_wait_loadcnt 0x0
	s_wait_alu depctr_va_sdst(0)
	v_add_co_ci_u32_e64 v166, null, s9, v0, s0
	s_wait_alu depctr_va_vcc(0)
	v_add_co_ci_u32_e64 v167, null, s7, v0, vcc_lo
	scratch_load_b32 v0, off, off offset:1532 th:TH_LOAD_LU ; 4-byte Folded Reload
	s_wait_loadcnt 0x0
	v_add_co_u32 v168, vcc_lo, s6, v0
	v_add_co_u32 v169, s0, s8, v0
	scratch_load_b32 v0, off, off offset:1524 th:TH_LOAD_LU ; 4-byte Folded Reload
	s_wait_loadcnt 0x0
	s_wait_alu depctr_va_sdst(0)
	v_add_co_ci_u32_e64 v170, null, s9, v0, s0
	s_wait_alu depctr_va_vcc(0)
	v_add_co_ci_u32_e64 v171, null, s7, v0, vcc_lo
	scratch_load_b32 v0, off, off offset:1472 th:TH_LOAD_LU ; 4-byte Folded Reload
	s_wait_loadcnt 0x0
	v_add_co_u32 v172, vcc_lo, s6, v0
	v_add_co_u32 v173, s0, s8, v0
	scratch_load_b32 v0, off, off offset:1468 th:TH_LOAD_LU ; 4-byte Folded Reload
	s_wait_loadcnt 0x0
	s_wait_alu depctr_va_sdst(0)
	v_add_co_ci_u32_e64 v174, null, s9, v0, s0
	s_wait_alu depctr_va_vcc(0)
	v_add_co_ci_u32_e64 v175, null, s7, v0, vcc_lo
	v_mov_b32_e32 v0, v8
.LBB0_143:                              ; =>This Inner Loop Header: Depth=1
	.loc	1 120 19                        ; attention_bwd.py:120:19 @[ attention_bwd.py:240:70 ]
	v_add_co_u32 v64, vcc_lo, v172, s16
	s_wait_alu depctr_va_vcc(0)
	s_delay_alu instid0(VALU_DEP_3)
	v_add_co_ci_u32_e64 v65, null, s17, v175, vcc_lo
	.loc	1 108 30                        ; attention_bwd.py:108:30 @[ attention_bwd.py:240:70 ]
	v_add_nc_u32_e32 v96, s1, v98
	.loc	1 101 25                        ; attention_bwd.py:101:25 @[ attention_bwd.py:240:70 ]
	s_add_co_i32 s1, s1, 16
	s_wait_alu depctr_sa_sdst(0)
	s_cmp_lg_u32 s1, 0x70
	.loc	1 102 21                        ; attention_bwd.py:102:21 @[ attention_bwd.py:240:70 ]
	global_load_u16 v176, v[64:65], off
	.loc	1 120 19                        ; attention_bwd.py:120:19 @[ attention_bwd.py:240:70 ]
	v_add_co_u32 v64, vcc_lo, v168, s16
	s_wait_alu depctr_va_vcc(0)
	v_add_co_ci_u32_e64 v65, null, s17, v171, vcc_lo
	.loc	1 110 34                        ; attention_bwd.py:110:34 @[ attention_bwd.py:240:70 ]
	v_cmp_ge_i32_e64 s0, v101, v96
	.loc	1 102 21                        ; attention_bwd.py:102:21 @[ attention_bwd.py:240:70 ]
	global_load_u16 v177, v[64:65], off
	.loc	1 120 19                        ; attention_bwd.py:120:19 @[ attention_bwd.py:240:70 ]
	v_add_co_u32 v64, vcc_lo, v164, s16
	s_wait_alu depctr_va_vcc(0)
	v_add_co_ci_u32_e64 v65, null, s17, v167, vcc_lo
	.loc	1 102 21                        ; attention_bwd.py:102:21 @[ attention_bwd.py:240:70 ]
	global_load_u16 v178, v[64:65], off
	.loc	1 120 19                        ; attention_bwd.py:120:19 @[ attention_bwd.py:240:70 ]
	v_add_co_u32 v64, vcc_lo, v160, s16
	s_wait_alu depctr_va_vcc(0)
	v_add_co_ci_u32_e64 v65, null, s17, v163, vcc_lo
	;; [unrolled: 6-line block ×6, first 2 shown]
	.loc	1 102 21                        ; attention_bwd.py:102:21 @[ attention_bwd.py:240:70 ]
	global_load_u16 v183, v[64:65], off
	.loc	1 117 25                        ; attention_bwd.py:117:25 @[ attention_bwd.py:240:70 ]
	s_wait_loadcnt_dscnt 0x0
	s_barrier_signal -1
	s_barrier_wait -1
	global_inv scope:SCOPE_SE
	.loc	1 102 21                        ; attention_bwd.py:102:21 @[ attention_bwd.py:240:70 ]
	ds_load_u16 v128, v247
	ds_load_u16 v129, v247 offset:64
	ds_load_u16 v130, v247 offset:128
	;; [unrolled: 1-line block ×15, first 2 shown]
	s_wait_dscnt 0xf
	ds_load_u16_d16_hi v128, v247 offset:32
	s_wait_dscnt 0xf
	ds_load_u16_d16_hi v129, v247 offset:96
	;; [unrolled: 2-line block ×16, first 2 shown]
	.loc	1 104 23                        ; attention_bwd.py:104:23 @[ attention_bwd.py:240:70 ]
	s_wait_dscnt 0xc
	v_wmma_f32_16x16x16_f16 v[184:191], v[128:131], v[124:127], 0
	s_wait_dscnt 0x8
	s_delay_alu instid0(VALU_DEP_1) | instskip(SKIP_1) | instid1(VALU_DEP_1)
	v_wmma_f32_16x16x16_f16 v[184:191], v[132:135], v[235:238], v[184:191]
	s_wait_dscnt 0x4
	v_wmma_f32_16x16x16_f16 v[184:191], v[136:139], v[116:119], v[184:191]
	s_wait_dscnt 0x0
	s_delay_alu instid0(VALU_DEP_1) | instskip(NEXT) | instid1(VALU_DEP_1)
	v_wmma_f32_16x16x16_f16 v[184:191], v[140:143], v[108:111], v[184:191]
	.loc	1 105 30                        ; attention_bwd.py:105:30 @[ attention_bwd.py:240:70 ]
	v_sub_f32_e32 v64, v184, v231
	s_delay_alu instid0(VALU_DEP_2) | instskip(NEXT) | instid1(VALU_DEP_3)
	v_sub_f32_e32 v65, v185, v231
	v_sub_f32_e32 v66, v186, v231
	s_delay_alu instid0(VALU_DEP_4)
	v_sub_f32_e32 v67, v187, v231
	v_sub_f32_e32 v68, v188, v231
	;; [unrolled: 1-line block ×5, first 2 shown]
	.loc	1 104 23                        ; attention_bwd.py:104:23 @[ attention_bwd.py:240:70 ]
	v_wmma_f32_16x16x16_f16 v[184:191], v[128:131], v[103:106], 0
	s_delay_alu instid0(VALU_DEP_1) | instskip(NEXT) | instid1(VALU_DEP_1)
	v_wmma_f32_16x16x16_f16 v[184:191], v[132:135], v[220:223], v[184:191]
	v_wmma_f32_16x16x16_f16 v[184:191], v[136:139], v[120:123], v[184:191]
	s_delay_alu instid0(VALU_DEP_1) | instskip(NEXT) | instid1(VALU_DEP_1)
	v_wmma_f32_16x16x16_f16 v[184:191], v[140:143], v[112:115], v[184:191]
	.loc	1 105 30                        ; attention_bwd.py:105:30 @[ attention_bwd.py:240:70 ]
	v_sub_f32_e32 v72, v184, v232
	s_delay_alu instid0(VALU_DEP_2) | instskip(NEXT) | instid1(VALU_DEP_3)
	v_sub_f32_e32 v73, v185, v232
	v_sub_f32_e32 v74, v186, v232
	s_delay_alu instid0(VALU_DEP_4)
	v_sub_f32_e32 v75, v187, v232
	v_sub_f32_e32 v76, v188, v232
	;; [unrolled: 1-line block ×5, first 2 shown]
	.loc	1 103 21                        ; attention_bwd.py:103:21 @[ attention_bwd.py:240:70 ]
	ds_load_u16 v136, v247 offset:2048
	ds_load_u16 v137, v247 offset:2112
	;; [unrolled: 1-line block ×16, first 2 shown]
	s_wait_dscnt 0xf
	ds_load_u16_d16_hi v136, v247 offset:2080
	s_wait_dscnt 0xf
	ds_load_u16_d16_hi v137, v247 offset:2144
	;; [unrolled: 2-line block ×16, first 2 shown]
	.loc	1 105 25                        ; attention_bwd.py:105:25 @[ attention_bwd.py:240:70 ]
	v_exp_f32_e32 v64, v64
	v_exp_f32_e32 v66, v66
	.loc	1 108 30                        ; attention_bwd.py:108:30 @[ attention_bwd.py:240:70 ]
	v_add_nc_u32_e32 v97, 2, v96
	.loc	1 112 24                        ; attention_bwd.py:112:24 @[ attention_bwd.py:240:70 ]
	s_wait_dscnt 0xc
	v_wmma_f32_16x16x16_f16 v[128:135], v[136:139], v[212:215], 0
	s_delay_alu instid0(VALU_DEP_2) | instskip(SKIP_1) | instid1(TRANS32_DEP_2)
	.loc	1 110 34                        ; attention_bwd.py:110:34 @[ attention_bwd.py:240:70 ]
	v_cmp_ge_i32_e32 vcc_lo, v101, v97
	s_wait_alu depctr_va_sdst(0)
	v_cndmask_b32_e64 v64, 0, v64, s0
	v_cmp_ge_i32_e64 s0, v100, v96
	.loc	1 112 24                        ; attention_bwd.py:112:24 @[ attention_bwd.py:240:70 ]
	s_wait_dscnt 0x8
	v_wmma_f32_16x16x16_f16 v[128:135], v[140:143], v[239:242], v[128:135]
	.loc	1 110 34                        ; attention_bwd.py:110:34 @[ attention_bwd.py:240:70 ]
	s_wait_alu depctr_va_vcc(0)
	v_cndmask_b32_e32 v66, 0, v66, vcc_lo
	.loc	1 112 24                        ; attention_bwd.py:112:24 @[ attention_bwd.py:240:70 ]
	s_wait_dscnt 0x4
	s_delay_alu instid0(VALU_DEP_2) | instskip(SKIP_1) | instid1(VALU_DEP_1)
	v_wmma_f32_16x16x16_f16 v[128:135], v[184:187], v[200:203], v[128:135]
	s_wait_dscnt 0x0
	v_wmma_f32_16x16x16_f16 v[128:135], v[188:191], v[192:195], v[128:135]
	s_delay_alu instid0(VALU_DEP_1) | instskip(NEXT) | instid1(VALU_DEP_2)
	.loc	1 113 23                        ; attention_bwd.py:113:23 @[ attention_bwd.py:240:70 ]
	v_sub_f32_e32 v80, v128, v210
	v_sub_f32_e32 v81, v129, v210
	s_delay_alu instid0(VALU_DEP_3) | instskip(NEXT) | instid1(VALU_DEP_4)
	v_sub_f32_e32 v82, v130, v210
	v_sub_f32_e32 v83, v131, v210
	;; [unrolled: 1-line block ×6, first 2 shown]
	.loc	1 112 24                        ; attention_bwd.py:112:24 @[ attention_bwd.py:240:70 ]
	v_wmma_f32_16x16x16_f16 v[128:135], v[136:139], v[204:207], 0
	s_delay_alu instid0(VALU_DEP_1) | instskip(NEXT) | instid1(VALU_DEP_1)
	v_wmma_f32_16x16x16_f16 v[128:135], v[140:143], v[225:228], v[128:135]
	v_wmma_f32_16x16x16_f16 v[128:135], v[184:187], v[216:219], v[128:135]
	.loc	1 117 25                        ; attention_bwd.py:117:25 @[ attention_bwd.py:240:70 ]
	ds_load_b128 v[140:143], v102 offset:1024
	ds_load_b128 v[184:187], v102 offset:1536
	.loc	1 112 24                        ; attention_bwd.py:112:24 @[ attention_bwd.py:240:70 ]
	v_wmma_f32_16x16x16_f16 v[128:135], v[188:191], v[196:199], v[128:135]
	s_delay_alu instid0(VALU_DEP_1) | instskip(NEXT) | instid1(VALU_DEP_2)
	.loc	1 113 23                        ; attention_bwd.py:113:23 @[ attention_bwd.py:240:70 ]
	v_sub_f32_e32 v88, v128, v211
	v_sub_f32_e32 v89, v129, v211
	s_delay_alu instid0(VALU_DEP_3)
	v_sub_f32_e32 v91, v131, v211
	.loc	1 114 19                        ; attention_bwd.py:114:19 @[ attention_bwd.py:240:70 ]
	v_fma_mixlo_f16 v128, v64, v80, 0
	v_fma_mixlo_f16 v129, v66, v82, 0
	.loc	1 105 25                        ; attention_bwd.py:105:25 @[ attention_bwd.py:240:70 ]
	v_exp_f32_e32 v64, v68
	.loc	1 108 30                        ; attention_bwd.py:108:30 @[ attention_bwd.py:240:70 ]
	v_add_nc_u32_e32 v66, 4, v96
	.loc	1 113 23                        ; attention_bwd.py:113:23 @[ attention_bwd.py:240:70 ]
	v_sub_f32_e32 v90, v130, v211
	v_dual_sub_f32 v93, v133, v211 :: v_dual_add_nc_u32 v68, 6, v96
	v_sub_f32_e32 v95, v135, v211
	s_delay_alu instid0(VALU_DEP_4)
	.loc	1 110 34                        ; attention_bwd.py:110:34 @[ attention_bwd.py:240:70 ]
	v_cmp_ge_i32_e32 vcc_lo, v101, v66
	.loc	1 113 23                        ; attention_bwd.py:113:23 @[ attention_bwd.py:240:70 ]
	v_sub_f32_e32 v94, v134, v211
	v_sub_f32_e32 v92, v132, v211
	.loc	1 117 25                        ; attention_bwd.py:117:25 @[ attention_bwd.py:240:70 ]
	ds_load_b128 v[132:135], v102
	ds_load_b128 v[136:139], v102 offset:512
	.loc	1 110 34                        ; attention_bwd.py:110:34 @[ attention_bwd.py:240:70 ]
	s_wait_alu depctr_va_vcc(0)
	v_cndmask_b32_e32 v64, 0, v64, vcc_lo
	v_cmp_ge_i32_e32 vcc_lo, v101, v68
	s_delay_alu instid0(VALU_DEP_2) | instskip(SKIP_3) | instid1(TRANS32_DEP_1)
	.loc	1 114 19                        ; attention_bwd.py:114:19 @[ attention_bwd.py:240:70 ]
	v_fma_mixlo_f16 v130, v64, v84, 0
	.loc	1 105 25                        ; attention_bwd.py:105:25 @[ attention_bwd.py:240:70 ]
	v_exp_f32_e32 v64, v70
	.loc	1 109 39                        ; attention_bwd.py:109:39 @[ attention_bwd.py:240:70 ]
	v_add_nc_u32_e32 v70, 7, v96
	.loc	1 110 34                        ; attention_bwd.py:110:34 @[ attention_bwd.py:240:70 ]
	s_wait_alu depctr_va_vcc(0)
	v_cndmask_b32_e32 v64, 0, v64, vcc_lo
	s_delay_alu instid0(VALU_DEP_2) | instskip(NEXT) | instid1(VALU_DEP_2)
	v_cmp_ge_i32_e32 vcc_lo, v101, v70
	.loc	1 114 19                        ; attention_bwd.py:114:19 @[ attention_bwd.py:240:70 ]
	v_fma_mixlo_f16 v131, v64, v86, 0
	.loc	1 105 25                        ; attention_bwd.py:105:25 @[ attention_bwd.py:240:70 ]
	v_exp_f32_e32 v64, v71
	v_exp_f32_e32 v71, v72
	.loc	1 110 34                        ; attention_bwd.py:110:34 @[ attention_bwd.py:240:70 ]
	s_wait_alu depctr_va_vcc(0)
	s_delay_alu instid0(TRANS32_DEP_2) | instskip(SKIP_1) | instid1(TRANS32_DEP_1)
	v_cndmask_b32_e32 v64, 0, v64, vcc_lo
	s_wait_alu depctr_va_sdst(0)
	v_cndmask_b32_e64 v71, 0, v71, s0
	s_delay_alu instid0(VALU_DEP_2) | instskip(SKIP_2) | instid1(VALU_DEP_1)
	.loc	1 117 25                        ; attention_bwd.py:117:25 @[ attention_bwd.py:240:70 ]
	v_fma_mixhi_f16 v131, v64, v87, 0
	.loc	1 105 25                        ; attention_bwd.py:105:25 @[ attention_bwd.py:240:70 ]
	v_exp_f32_e32 v64, v69
	.loc	1 108 30                        ; attention_bwd.py:108:30 @[ attention_bwd.py:240:70 ]
	v_add_nc_u32_e32 v69, 5, v96
	.loc	1 110 34                        ; attention_bwd.py:110:34 @[ attention_bwd.py:240:70 ]
	v_cmp_ge_i32_e32 vcc_lo, v101, v69
	s_wait_alu depctr_va_vcc(0)
	s_delay_alu instid0(TRANS32_DEP_1) | instskip(NEXT) | instid1(VALU_DEP_1)
	v_cndmask_b32_e32 v64, 0, v64, vcc_lo
	.loc	1 117 25                        ; attention_bwd.py:117:25 @[ attention_bwd.py:240:70 ]
	v_fma_mixhi_f16 v130, v64, v85, 0
	.loc	1 105 25                        ; attention_bwd.py:105:25 @[ attention_bwd.py:240:70 ]
	v_exp_f32_e32 v64, v67
	.loc	1 108 30                        ; attention_bwd.py:108:30 @[ attention_bwd.py:240:70 ]
	v_add_nc_u32_e32 v67, 3, v96
	s_delay_alu instid0(VALU_DEP_1) | instskip(SKIP_1) | instid1(TRANS32_DEP_1)
	.loc	1 110 34                        ; attention_bwd.py:110:34 @[ attention_bwd.py:240:70 ]
	v_cmp_ge_i32_e32 vcc_lo, v101, v67
	s_wait_alu depctr_va_vcc(0)
	v_cndmask_b32_e32 v64, 0, v64, vcc_lo
	s_delay_alu instid0(VALU_DEP_1) | instskip(SKIP_2) | instid1(VALU_DEP_1)
	.loc	1 117 25                        ; attention_bwd.py:117:25 @[ attention_bwd.py:240:70 ]
	v_fma_mixhi_f16 v129, v64, v83, 0
	.loc	1 105 25                        ; attention_bwd.py:105:25 @[ attention_bwd.py:240:70 ]
	v_exp_f32_e32 v64, v65
	.loc	1 108 30                        ; attention_bwd.py:108:30 @[ attention_bwd.py:240:70 ]
	v_add_nc_u32_e32 v65, 1, v96
	.loc	1 110 34                        ; attention_bwd.py:110:34 @[ attention_bwd.py:240:70 ]
	v_cmp_ge_i32_e32 vcc_lo, v101, v65
	s_wait_alu depctr_va_vcc(0)
	s_delay_alu instid0(TRANS32_DEP_1) | instskip(SKIP_1) | instid1(VALU_DEP_2)
	v_cndmask_b32_e32 v64, 0, v64, vcc_lo
	v_cmp_ge_i32_e32 vcc_lo, v100, v97
	.loc	1 117 25                        ; attention_bwd.py:117:25 @[ attention_bwd.py:240:70 ]
	v_fma_mixhi_f16 v128, v64, v81, 0
	.loc	1 105 25                        ; attention_bwd.py:105:25 @[ attention_bwd.py:240:70 ]
	v_exp_f32_e32 v64, v74
	.loc	1 117 25                        ; attention_bwd.py:117:25 @[ attention_bwd.py:240:70 ]
	s_wait_dscnt 0x1
	s_delay_alu instid0(VALU_DEP_1)
	v_wmma_f32_16x16x16_f16 v[8:15], v[132:135], v[128:131], v[8:15]
	s_wait_dscnt 0x0
	v_wmma_f32_16x16x16_f16 v[16:23], v[136:139], v[128:131], v[16:23]
	v_wmma_f32_16x16x16_f16 v[24:31], v[140:143], v[128:131], v[24:31]
	;; [unrolled: 1-line block ×3, first 2 shown]
	.loc	1 114 19                        ; attention_bwd.py:114:19 @[ attention_bwd.py:240:70 ]
	v_fma_mixlo_f16 v128, v71, v88, 0
	.loc	1 110 34                        ; attention_bwd.py:110:34 @[ attention_bwd.py:240:70 ]
	s_wait_alu depctr_va_vcc(0)
	s_delay_alu instid0(TRANS32_DEP_1) | instskip(SKIP_1) | instid1(VALU_DEP_2)
	v_cndmask_b32_e32 v64, 0, v64, vcc_lo
	v_cmp_ge_i32_e32 vcc_lo, v100, v66
	.loc	1 114 19                        ; attention_bwd.py:114:19 @[ attention_bwd.py:240:70 ]
	v_fma_mixlo_f16 v129, v64, v90, 0
	.loc	1 105 25                        ; attention_bwd.py:105:25 @[ attention_bwd.py:240:70 ]
	v_exp_f32_e32 v64, v76
	.loc	1 110 34                        ; attention_bwd.py:110:34 @[ attention_bwd.py:240:70 ]
	s_wait_alu depctr_va_vcc(0)
	s_delay_alu instid0(TRANS32_DEP_1) | instskip(SKIP_1) | instid1(VALU_DEP_2)
	v_cndmask_b32_e32 v64, 0, v64, vcc_lo
	v_cmp_ge_i32_e32 vcc_lo, v100, v68
	.loc	1 114 19                        ; attention_bwd.py:114:19 @[ attention_bwd.py:240:70 ]
	v_fma_mixlo_f16 v130, v64, v92, 0
	.loc	1 105 25                        ; attention_bwd.py:105:25 @[ attention_bwd.py:240:70 ]
	v_exp_f32_e32 v64, v78
	;; [unrolled: 9-line block ×3, first 2 shown]
	.loc	1 110 34                        ; attention_bwd.py:110:34 @[ attention_bwd.py:240:70 ]
	s_wait_alu depctr_va_vcc(0)
	s_delay_alu instid0(TRANS32_DEP_1) | instskip(SKIP_1) | instid1(VALU_DEP_2)
	v_cndmask_b32_e32 v64, 0, v64, vcc_lo
	v_cmp_ge_i32_e32 vcc_lo, v100, v69
	.loc	1 117 25                        ; attention_bwd.py:117:25 @[ attention_bwd.py:240:70 ]
	v_fma_mixhi_f16 v131, v64, v95, 0
	.loc	1 105 25                        ; attention_bwd.py:105:25 @[ attention_bwd.py:240:70 ]
	v_exp_f32_e32 v64, v77
	.loc	1 110 34                        ; attention_bwd.py:110:34 @[ attention_bwd.py:240:70 ]
	s_wait_alu depctr_va_vcc(0)
	s_delay_alu instid0(TRANS32_DEP_1) | instskip(SKIP_1) | instid1(VALU_DEP_2)
	v_cndmask_b32_e32 v64, 0, v64, vcc_lo
	v_cmp_ge_i32_e32 vcc_lo, v100, v67
	.loc	1 117 25                        ; attention_bwd.py:117:25 @[ attention_bwd.py:240:70 ]
	v_fma_mixhi_f16 v130, v64, v93, 0
	.loc	1 105 25                        ; attention_bwd.py:105:25 @[ attention_bwd.py:240:70 ]
	v_exp_f32_e32 v64, v75
	;; [unrolled: 9-line block ×3, first 2 shown]
	.loc	1 110 34                        ; attention_bwd.py:110:34 @[ attention_bwd.py:240:70 ]
	s_wait_alu depctr_va_vcc(0)
	s_delay_alu instid0(TRANS32_DEP_1) | instskip(NEXT) | instid1(VALU_DEP_1)
	v_cndmask_b32_e32 v64, 0, v64, vcc_lo
	.loc	1 117 25                        ; attention_bwd.py:117:25 @[ attention_bwd.py:240:70 ]
	v_fma_mixhi_f16 v128, v64, v89, 0
	.loc	1 121 19                        ; attention_bwd.py:121:19 @[ attention_bwd.py:240:70 ]
	v_add_co_u32 v64, vcc_lo, v173, s16
	s_wait_alu depctr_va_vcc(0)
	v_add_co_ci_u32_e64 v65, null, s17, v174, vcc_lo
	s_delay_alu instid0(VALU_DEP_3)
	.loc	1 117 25                        ; attention_bwd.py:117:25 @[ attention_bwd.py:240:70 ]
	v_wmma_f32_16x16x16_f16 v[40:47], v[132:135], v[128:131], v[40:47]
	v_wmma_f32_16x16x16_f16 v[48:55], v[136:139], v[128:131], v[48:55]
	;; [unrolled: 1-line block ×3, first 2 shown]
	.loc	1 103 21                        ; attention_bwd.py:103:21 @[ attention_bwd.py:240:70 ]
	global_load_u16 v66, v[64:65], off
	.loc	1 121 19                        ; attention_bwd.py:121:19 @[ attention_bwd.py:240:70 ]
	v_add_co_u32 v64, vcc_lo, v169, s16
	s_wait_alu depctr_va_vcc(0)
	v_add_co_ci_u32_e64 v65, null, s17, v170, vcc_lo
	.loc	1 117 25                        ; attention_bwd.py:117:25 @[ attention_bwd.py:240:70 ]
	v_wmma_f32_16x16x16_f16 v[0:7], v[184:187], v[128:131], v[0:7]
	.loc	1 103 21                        ; attention_bwd.py:103:21 @[ attention_bwd.py:240:70 ]
	global_load_u16 v67, v[64:65], off
	.loc	1 121 19                        ; attention_bwd.py:121:19 @[ attention_bwd.py:240:70 ]
	v_add_co_u32 v64, vcc_lo, v165, s16
	s_wait_alu depctr_va_vcc(0)
	v_add_co_ci_u32_e64 v65, null, s17, v166, vcc_lo
	.loc	1 103 21                        ; attention_bwd.py:103:21 @[ attention_bwd.py:240:70 ]
	global_load_u16 v68, v[64:65], off
	.loc	1 121 19                        ; attention_bwd.py:121:19 @[ attention_bwd.py:240:70 ]
	v_add_co_u32 v64, vcc_lo, v161, s16
	s_wait_alu depctr_va_vcc(0)
	v_add_co_ci_u32_e64 v65, null, s17, v162, vcc_lo
	;; [unrolled: 6-line block ×6, first 2 shown]
	.loc	1 101 25                        ; attention_bwd.py:101:25 @[ attention_bwd.py:240:70 ]
	v_add_co_u32 v145, vcc_lo, v145, s88
	s_wait_alu depctr_va_vcc(0)
	v_add_co_ci_u32_e64 v146, null, s89, v146, vcc_lo
	.loc	1 103 21                        ; attention_bwd.py:103:21 @[ attention_bwd.py:240:70 ]
	global_load_u16 v64, v[64:65], off
	.loc	1 101 25                        ; attention_bwd.py:101:25 @[ attention_bwd.py:240:70 ]
	v_add_co_u32 v149, vcc_lo, v149, s88
	s_wait_alu depctr_va_vcc(0)
	v_add_co_ci_u32_e64 v150, null, s89, v150, vcc_lo
	v_add_co_u32 v153, vcc_lo, v153, s88
	s_wait_alu depctr_va_vcc(0)
	v_add_co_ci_u32_e64 v154, null, s89, v154, vcc_lo
	;; [unrolled: 3-line block ×15, first 2 shown]
	.loc	1 102 21                        ; attention_bwd.py:102:21 @[ attention_bwd.py:240:70 ]
	s_wait_loadcnt 0x0
	s_barrier_signal -1
	s_barrier_wait -1
	global_inv scope:SCOPE_SE
	ds_store_b16 v244, v176
	ds_store_b16 v244, v177 offset:256
	ds_store_b16 v244, v178 offset:512
	;; [unrolled: 1-line block ×7, first 2 shown]
	.loc	1 103 21                        ; attention_bwd.py:103:21 @[ attention_bwd.py:240:70 ]
	ds_store_b16 v244, v66 offset:2048
	ds_store_b16 v244, v67 offset:2304
	;; [unrolled: 1-line block ×8, first 2 shown]
	.loc	1 101 25                        ; attention_bwd.py:101:25 @[ attention_bwd.py:240:70 ]
	s_cbranch_scc1 .LBB0_143
; %bb.144:
	.loc	1 117 25                        ; attention_bwd.py:117:25 @[ attention_bwd.py:240:70 ]
	s_wait_loadcnt_dscnt 0x0
	s_barrier_signal -1
	.loc	1 101 25                        ; attention_bwd.py:101:25 @[ attention_bwd.py:240:70 ]
	s_or_b32 s0, s40, 0x70
	v_readlane_b32 s10, v252, 18
	v_readlane_b32 s22, v252, 22
	;; [unrolled: 1-line block ×8, first 2 shown]
	.loc	1 117 25                        ; attention_bwd.py:117:25 @[ attention_bwd.py:240:70 ]
	s_barrier_wait -1
	global_inv scope:SCOPE_SE
	scratch_load_b32 v99, off, off offset:1352 th:TH_LOAD_LU ; 4-byte Folded Reload
	.loc	1 102 21                        ; attention_bwd.py:102:21 @[ attention_bwd.py:240:70 ]
	ds_load_u16 v136, v247
	ds_load_u16 v137, v247 offset:64
	ds_load_u16 v138, v247 offset:128
	;; [unrolled: 1-line block ×15, first 2 shown]
	s_wait_dscnt 0xf
	ds_load_u16_d16_hi v136, v247 offset:32
	s_wait_dscnt 0xf
	ds_load_u16_d16_hi v137, v247 offset:96
	;; [unrolled: 2-line block ×16, first 2 shown]
	.loc	1 104 23                        ; attention_bwd.py:104:23 @[ attention_bwd.py:240:70 ]
	s_wait_dscnt 0xc
	v_wmma_f32_16x16x16_f16 v[128:135], v[136:139], v[124:127], 0
	s_wait_dscnt 0x8
	s_delay_alu instid0(VALU_DEP_1) | instskip(SKIP_1) | instid1(VALU_DEP_1)
	v_wmma_f32_16x16x16_f16 v[128:135], v[140:143], v[235:238], v[128:135]
	s_wait_dscnt 0x4
	v_wmma_f32_16x16x16_f16 v[128:135], v[144:147], v[116:119], v[128:135]
	s_wait_dscnt 0x0
	s_delay_alu instid0(VALU_DEP_1) | instskip(NEXT) | instid1(VALU_DEP_1)
	v_wmma_f32_16x16x16_f16 v[128:135], v[148:151], v[108:111], v[128:135]
	.loc	1 105 30                        ; attention_bwd.py:105:30 @[ attention_bwd.py:240:70 ]
	v_sub_f32_e32 v64, v128, v231
	s_delay_alu instid0(VALU_DEP_2) | instskip(NEXT) | instid1(VALU_DEP_3)
	v_sub_f32_e32 v65, v129, v231
	v_sub_f32_e32 v66, v130, v231
	s_delay_alu instid0(VALU_DEP_4)
	v_sub_f32_e32 v67, v131, v231
	v_sub_f32_e32 v68, v132, v231
	;; [unrolled: 1-line block ×5, first 2 shown]
	.loc	1 104 23                        ; attention_bwd.py:104:23 @[ attention_bwd.py:240:70 ]
	v_wmma_f32_16x16x16_f16 v[128:135], v[136:139], v[103:106], 0
	s_delay_alu instid0(VALU_DEP_1) | instskip(NEXT) | instid1(VALU_DEP_1)
	v_wmma_f32_16x16x16_f16 v[128:135], v[140:143], v[220:223], v[128:135]
	v_wmma_f32_16x16x16_f16 v[128:135], v[144:147], v[120:123], v[128:135]
	s_delay_alu instid0(VALU_DEP_1)
	v_wmma_f32_16x16x16_f16 v[128:135], v[148:151], v[112:115], v[128:135]
	.loc	1 103 21                        ; attention_bwd.py:103:21 @[ attention_bwd.py:240:70 ]
	ds_load_u16 v136, v247 offset:2048
	ds_load_u16 v137, v247 offset:2112
	;; [unrolled: 1-line block ×16, first 2 shown]
	s_wait_dscnt 0xf
	ds_load_u16_d16_hi v136, v247 offset:2080
	s_wait_dscnt 0xf
	ds_load_u16_d16_hi v137, v247 offset:2144
	;; [unrolled: 2-line block ×16, first 2 shown]
	.loc	1 105 30                        ; attention_bwd.py:105:30 @[ attention_bwd.py:240:70 ]
	v_sub_f32_e32 v72, v128, v232
	v_sub_f32_e32 v73, v129, v232
	;; [unrolled: 1-line block ×8, first 2 shown]
	.loc	1 112 24                        ; attention_bwd.py:112:24 @[ attention_bwd.py:240:70 ]
	s_wait_dscnt 0xc
	v_wmma_f32_16x16x16_f16 v[128:135], v[136:139], v[212:215], 0
	.loc	1 105 25                        ; attention_bwd.py:105:25 @[ attention_bwd.py:240:70 ]
	v_exp_f32_e32 v70, v70
	v_exp_f32_e32 v68, v68
	;; [unrolled: 1-line block ×3, first 2 shown]
	.loc	1 112 24                        ; attention_bwd.py:112:24 @[ attention_bwd.py:240:70 ]
	s_wait_dscnt 0x8
	v_wmma_f32_16x16x16_f16 v[128:135], v[140:143], v[239:242], v[128:135]
	.loc	1 105 25                        ; attention_bwd.py:105:25 @[ attention_bwd.py:240:70 ]
	v_exp_f32_e32 v64, v64
	.loc	1 112 24                        ; attention_bwd.py:112:24 @[ attention_bwd.py:240:70 ]
	s_wait_dscnt 0x4
	s_delay_alu instid0(VALU_DEP_1) | instskip(SKIP_1) | instid1(VALU_DEP_1)
	v_wmma_f32_16x16x16_f16 v[128:135], v[144:147], v[200:203], v[128:135]
	s_wait_dscnt 0x0
	v_wmma_f32_16x16x16_f16 v[128:135], v[148:151], v[192:195], v[128:135]
	s_delay_alu instid0(VALU_DEP_1) | instskip(NEXT) | instid1(VALU_DEP_2)
	.loc	1 113 23                        ; attention_bwd.py:113:23 @[ attention_bwd.py:240:70 ]
	v_sub_f32_e32 v80, v128, v210
	v_sub_f32_e32 v81, v129, v210
	s_delay_alu instid0(VALU_DEP_3) | instskip(NEXT) | instid1(VALU_DEP_4)
	v_sub_f32_e32 v82, v130, v210
	v_sub_f32_e32 v83, v131, v210
	;; [unrolled: 1-line block ×6, first 2 shown]
	.loc	1 112 24                        ; attention_bwd.py:112:24 @[ attention_bwd.py:240:70 ]
	v_wmma_f32_16x16x16_f16 v[128:135], v[136:139], v[204:207], 0
	s_delay_alu instid0(VALU_DEP_1) | instskip(NEXT) | instid1(VALU_DEP_1)
	v_wmma_f32_16x16x16_f16 v[128:135], v[140:143], v[225:228], v[128:135]
	v_wmma_f32_16x16x16_f16 v[128:135], v[144:147], v[216:219], v[128:135]
	.loc	1 117 25                        ; attention_bwd.py:117:25 @[ attention_bwd.py:240:70 ]
	ds_load_b128 v[140:143], v102 offset:1024
	ds_load_b128 v[144:147], v102 offset:1536
	.loc	1 112 24                        ; attention_bwd.py:112:24 @[ attention_bwd.py:240:70 ]
	v_wmma_f32_16x16x16_f16 v[128:135], v[148:151], v[196:199], v[128:135]
	s_delay_alu instid0(VALU_DEP_1) | instskip(NEXT) | instid1(VALU_DEP_2)
	.loc	1 113 23                        ; attention_bwd.py:113:23 @[ attention_bwd.py:240:70 ]
	v_sub_f32_e32 v90, v130, v211
	v_sub_f32_e32 v93, v133, v211
	s_delay_alu instid0(VALU_DEP_3) | instskip(NEXT) | instid1(VALU_DEP_4)
	v_sub_f32_e32 v89, v129, v211
	v_sub_f32_e32 v91, v131, v211
	;; [unrolled: 1-line block ×6, first 2 shown]
	.loc	1 117 25                        ; attention_bwd.py:117:25 @[ attention_bwd.py:240:70 ]
	ds_load_b128 v[132:135], v102
	ds_load_b128 v[136:139], v102 offset:512
.Ltmp145:
	.loc	1 171 58                        ; attention_bwd.py:171:58
	s_wait_loadcnt 0x0
	s_wait_alu depctr_sa_sdst(0)
	v_or_b32_e32 v96, s0, v99
	s_delay_alu instid0(VALU_DEP_1) | instskip(SKIP_1) | instid1(VALU_DEP_2)
.Ltmp146:
	.loc	1 108 30                        ; attention_bwd.py:108:30 @[ attention_bwd.py:240:70 ]
	v_or_b32_e32 v97, 6, v96
	v_or_b32_e32 v98, 4, v96
	.loc	1 110 34                        ; attention_bwd.py:110:34 @[ attention_bwd.py:240:70 ]
	v_cmp_ge_i32_e32 vcc_lo, v101, v97
	s_wait_alu depctr_va_vcc(0)
	v_cndmask_b32_e32 v70, 0, v70, vcc_lo
	s_delay_alu instid0(VALU_DEP_3) | instskip(NEXT) | instid1(VALU_DEP_2)
	v_cmp_ge_i32_e32 vcc_lo, v101, v98
	.loc	1 114 19                        ; attention_bwd.py:114:19 @[ attention_bwd.py:240:70 ]
	v_fma_mixlo_f16 v131, v70, v86, 0
	.loc	1 110 34                        ; attention_bwd.py:110:34 @[ attention_bwd.py:240:70 ]
	s_wait_alu depctr_va_vcc(0)
	v_cndmask_b32_e32 v68, 0, v68, vcc_lo
	.loc	1 108 30                        ; attention_bwd.py:108:30 @[ attention_bwd.py:240:70 ]
	v_or_b32_e32 v70, 7, v96
	s_delay_alu instid0(VALU_DEP_2) | instskip(SKIP_1) | instid1(VALU_DEP_1)
	.loc	1 114 19                        ; attention_bwd.py:114:19 @[ attention_bwd.py:240:70 ]
	v_fma_mixlo_f16 v130, v68, v84, 0
	.loc	1 108 30                        ; attention_bwd.py:108:30 @[ attention_bwd.py:240:70 ]
	v_or_b32_e32 v68, 2, v96
	.loc	1 110 34                        ; attention_bwd.py:110:34 @[ attention_bwd.py:240:70 ]
	v_cmp_ge_i32_e32 vcc_lo, v101, v68
	s_wait_alu depctr_va_vcc(0)
	v_cndmask_b32_e32 v66, 0, v66, vcc_lo
	s_delay_alu instid0(VALU_DEP_1) | instskip(SKIP_2) | instid1(VALU_DEP_2)
	.loc	1 114 19                        ; attention_bwd.py:114:19 @[ attention_bwd.py:240:70 ]
	v_fma_mixlo_f16 v129, v66, v82, 0
	.loc	1 108 30                        ; attention_bwd.py:108:30 @[ attention_bwd.py:240:70 ]
	v_or_b32_e32 v66, s0, v99
	.loc	1 110 34                        ; attention_bwd.py:110:34 @[ attention_bwd.py:240:70 ]
	v_cmp_ge_i32_e64 s0, v100, v98
	v_cmp_ge_i32_e32 vcc_lo, v101, v66
	s_wait_alu depctr_va_vcc(0)
	v_cndmask_b32_e32 v64, 0, v64, vcc_lo
	v_cmp_ge_i32_e32 vcc_lo, v101, v70
	s_delay_alu instid0(VALU_DEP_2) | instskip(SKIP_3) | instid1(TRANS32_DEP_2)
	.loc	1 114 19                        ; attention_bwd.py:114:19 @[ attention_bwd.py:240:70 ]
	v_fma_mixlo_f16 v128, v64, v80, 0
	.loc	1 105 25                        ; attention_bwd.py:105:25 @[ attention_bwd.py:240:70 ]
	v_exp_f32_e32 v64, v71
	v_exp_f32_e32 v71, v76
	.loc	1 110 34                        ; attention_bwd.py:110:34 @[ attention_bwd.py:240:70 ]
	s_wait_alu depctr_va_vcc(0)
	v_cndmask_b32_e32 v64, 0, v64, vcc_lo
	s_wait_alu depctr_va_sdst(0)
	s_delay_alu instid0(TRANS32_DEP_1)
	v_cndmask_b32_e64 v71, 0, v71, s0
.Ltmp147:
	.loc	1 93 36                         ; attention_bwd.py:93:36 @[ attention_bwd.py:253:40 ]
	v_readlane_b32 s0, v250, 27
	v_readlane_b32 s6, v251, 1
	;; [unrolled: 1-line block ×3, first 2 shown]
.Ltmp148:
	.loc	1 117 25                        ; attention_bwd.py:117:25 @[ attention_bwd.py:240:70 ]
	v_fma_mixhi_f16 v131, v64, v87, 0
	.loc	1 105 25                        ; attention_bwd.py:105:25 @[ attention_bwd.py:240:70 ]
	v_exp_f32_e32 v64, v69
	.loc	1 108 30                        ; attention_bwd.py:108:30 @[ attention_bwd.py:240:70 ]
	v_or_b32_e32 v69, 5, v96
.Ltmp149:
	.loc	1 93 36                         ; attention_bwd.py:93:36 @[ attention_bwd.py:253:40 ]
	v_readlane_b32 s3, v250, 30
	v_readlane_b32 s2, v250, 23
	;; [unrolled: 1-line block ×4, first 2 shown]
.Ltmp150:
	.loc	1 110 34                        ; attention_bwd.py:110:34 @[ attention_bwd.py:240:70 ]
	v_cmp_ge_i32_e32 vcc_lo, v101, v69
.Ltmp151:
	.loc	1 93 36                         ; attention_bwd.py:93:36 @[ attention_bwd.py:253:40 ]
	v_readlane_b32 s7, v251, 2
.Ltmp152:
	.loc	1 245 29                        ; attention_bwd.py:245:29
	s_ashr_i32 s1, s40, 5
.Ltmp153:
	.loc	1 93 36                         ; attention_bwd.py:93:36 @[ attention_bwd.py:253:40 ]
	v_readlane_b32 s4, v250, 31
	.loc	1 101 25                        ; attention_bwd.py:101:25 @[ attention_bwd.py:253:40 ]
	s_wait_alu depctr_sa_sdst(0)
	s_cmp_gt_i32 s1, 0
.Ltmp154:
	.loc	1 110 34                        ; attention_bwd.py:110:34 @[ attention_bwd.py:240:70 ]
	s_wait_alu depctr_va_vcc(0)
	v_cndmask_b32_e32 v64, 0, v64, vcc_lo
.Ltmp155:
	.loc	1 101 25                        ; attention_bwd.py:101:25 @[ attention_bwd.py:253:40 ]
	s_cselect_b32 s18, -1, 0
	s_cmp_lt_i32 s1, 1
	.loc	1 93 36                         ; attention_bwd.py:93:36 @[ attention_bwd.py:253:40 ]
	v_readlane_b32 s5, v251, 0
	s_delay_alu instid0(VALU_DEP_2) | instskip(SKIP_2) | instid1(VALU_DEP_1)
.Ltmp156:
	.loc	1 117 25                        ; attention_bwd.py:117:25 @[ attention_bwd.py:240:70 ]
	v_fma_mixhi_f16 v130, v64, v85, 0
	.loc	1 105 25                        ; attention_bwd.py:105:25 @[ attention_bwd.py:240:70 ]
	v_exp_f32_e32 v64, v67
	.loc	1 108 30                        ; attention_bwd.py:108:30 @[ attention_bwd.py:240:70 ]
	v_or_b32_e32 v67, 3, v96
	.loc	1 110 34                        ; attention_bwd.py:110:34 @[ attention_bwd.py:240:70 ]
	v_cmp_ge_i32_e32 vcc_lo, v101, v67
	s_wait_alu depctr_va_vcc(0)
	s_delay_alu instid0(TRANS32_DEP_1) | instskip(NEXT) | instid1(VALU_DEP_1)
	v_cndmask_b32_e32 v64, 0, v64, vcc_lo
	.loc	1 117 25                        ; attention_bwd.py:117:25 @[ attention_bwd.py:240:70 ]
	v_fma_mixhi_f16 v129, v64, v83, 0
	.loc	1 105 25                        ; attention_bwd.py:105:25 @[ attention_bwd.py:240:70 ]
	v_exp_f32_e32 v64, v65
	.loc	1 108 30                        ; attention_bwd.py:108:30 @[ attention_bwd.py:240:70 ]
	v_or_b32_e32 v65, 1, v96
	s_delay_alu instid0(VALU_DEP_1) | instskip(SKIP_1) | instid1(TRANS32_DEP_1)
	.loc	1 110 34                        ; attention_bwd.py:110:34 @[ attention_bwd.py:240:70 ]
	v_cmp_ge_i32_e32 vcc_lo, v101, v65
	s_wait_alu depctr_va_vcc(0)
	v_cndmask_b32_e32 v64, 0, v64, vcc_lo
	v_cmp_ge_i32_e32 vcc_lo, v100, v97
	s_delay_alu instid0(VALU_DEP_2) | instskip(SKIP_2) | instid1(VALU_DEP_1)
	.loc	1 117 25                        ; attention_bwd.py:117:25 @[ attention_bwd.py:240:70 ]
	v_fma_mixhi_f16 v128, v64, v81, 0
	.loc	1 105 25                        ; attention_bwd.py:105:25 @[ attention_bwd.py:240:70 ]
	v_exp_f32_e32 v64, v78
	.loc	1 117 25                        ; attention_bwd.py:117:25 @[ attention_bwd.py:240:70 ]
	s_wait_dscnt 0x1
	v_wmma_f32_16x16x16_f16 v[8:15], v[132:135], v[128:131], v[8:15]
	s_wait_dscnt 0x0
	v_wmma_f32_16x16x16_f16 v[16:23], v[136:139], v[128:131], v[16:23]
	v_wmma_f32_16x16x16_f16 v[24:31], v[140:143], v[128:131], v[24:31]
	;; [unrolled: 1-line block ×3, first 2 shown]
	.loc	1 114 19                        ; attention_bwd.py:114:19 @[ attention_bwd.py:240:70 ]
	v_fma_mixlo_f16 v130, v71, v92, 0
	.loc	1 110 34                        ; attention_bwd.py:110:34 @[ attention_bwd.py:240:70 ]
	s_wait_alu depctr_va_vcc(0)
	s_delay_alu instid0(TRANS32_DEP_1) | instskip(SKIP_1) | instid1(VALU_DEP_2)
	v_cndmask_b32_e32 v64, 0, v64, vcc_lo
	v_cmp_ge_i32_e32 vcc_lo, v100, v68
	.loc	1 114 19                        ; attention_bwd.py:114:19 @[ attention_bwd.py:240:70 ]
	v_fma_mixlo_f16 v131, v64, v94, 0
	.loc	1 105 25                        ; attention_bwd.py:105:25 @[ attention_bwd.py:240:70 ]
	v_exp_f32_e32 v64, v74
	.loc	1 110 34                        ; attention_bwd.py:110:34 @[ attention_bwd.py:240:70 ]
	s_wait_alu depctr_va_vcc(0)
	s_delay_alu instid0(TRANS32_DEP_1) | instskip(SKIP_1) | instid1(VALU_DEP_2)
	v_cndmask_b32_e32 v64, 0, v64, vcc_lo
	v_cmp_ge_i32_e32 vcc_lo, v100, v66
	.loc	1 114 19                        ; attention_bwd.py:114:19 @[ attention_bwd.py:240:70 ]
	v_fma_mixlo_f16 v129, v64, v90, 0
	.loc	1 105 25                        ; attention_bwd.py:105:25 @[ attention_bwd.py:240:70 ]
	v_exp_f32_e32 v64, v72
	;; [unrolled: 9-line block ×3, first 2 shown]
	.loc	1 110 34                        ; attention_bwd.py:110:34 @[ attention_bwd.py:240:70 ]
	s_wait_alu depctr_va_vcc(0)
	s_delay_alu instid0(TRANS32_DEP_1) | instskip(SKIP_1) | instid1(VALU_DEP_2)
	v_cndmask_b32_e32 v64, 0, v64, vcc_lo
	v_cmp_ge_i32_e32 vcc_lo, v100, v69
	.loc	1 117 25                        ; attention_bwd.py:117:25 @[ attention_bwd.py:240:70 ]
	v_fma_mixhi_f16 v131, v64, v95, 0
	.loc	1 105 25                        ; attention_bwd.py:105:25 @[ attention_bwd.py:240:70 ]
	v_exp_f32_e32 v64, v77
	.loc	1 110 34                        ; attention_bwd.py:110:34 @[ attention_bwd.py:240:70 ]
	s_wait_alu depctr_va_vcc(0)
	s_delay_alu instid0(TRANS32_DEP_1) | instskip(SKIP_1) | instid1(VALU_DEP_2)
	v_cndmask_b32_e32 v64, 0, v64, vcc_lo
	v_cmp_ge_i32_e32 vcc_lo, v100, v67
	.loc	1 117 25                        ; attention_bwd.py:117:25 @[ attention_bwd.py:240:70 ]
	v_fma_mixhi_f16 v130, v64, v93, 0
	.loc	1 105 25                        ; attention_bwd.py:105:25 @[ attention_bwd.py:240:70 ]
	v_exp_f32_e32 v64, v75
	;; [unrolled: 9-line block ×3, first 2 shown]
	.loc	1 110 34                        ; attention_bwd.py:110:34 @[ attention_bwd.py:240:70 ]
	s_wait_alu depctr_va_vcc(0)
	s_delay_alu instid0(TRANS32_DEP_1) | instskip(NEXT) | instid1(VALU_DEP_1)
	v_cndmask_b32_e32 v64, 0, v64, vcc_lo
	.loc	1 117 25                        ; attention_bwd.py:117:25 @[ attention_bwd.py:240:70 ]
	v_fma_mixhi_f16 v128, v64, v89, 0
.Ltmp157:
	.loc	1 93 36                         ; attention_bwd.py:93:36 @[ attention_bwd.py:253:40 ]
	scratch_load_b32 v64, off, off offset:1356 th:TH_LOAD_LU ; 4-byte Folded Reload
.Ltmp158:
	.loc	1 117 25                        ; attention_bwd.py:117:25 @[ attention_bwd.py:240:70 ]
	v_wmma_f32_16x16x16_f16 v[40:47], v[132:135], v[128:131], v[40:47]
	v_wmma_f32_16x16x16_f16 v[48:55], v[136:139], v[128:131], v[48:55]
	;; [unrolled: 1-line block ×4, first 2 shown]
	v_dual_mov_b32 v130, 0 :: v_dual_mov_b32 v131, 0
.Ltmp159:
	.loc	1 93 36                         ; attention_bwd.py:93:36 @[ attention_bwd.py:253:40 ]
	s_wait_loadcnt 0x0
	v_mul_lo_u32 v64, s6, v64
	v_readlane_b32 s6, v252, 16
	v_readlane_b32 s7, v252, 17
	s_delay_alu instid0(VALU_DEP_3) | instskip(NEXT) | instid1(VALU_DEP_1)
	.loc	1 93 18 is_stmt 0               ; attention_bwd.py:93:18 @[ attention_bwd.py:253:40 ]
	v_ashrrev_i32_e32 v65, 31, v64
	v_lshlrev_b64_e32 v[128:129], 1, v[64:65]
	s_delay_alu instid0(VALU_DEP_1) | instskip(SKIP_1) | instid1(VALU_DEP_2)
	v_add_co_u32 v146, vcc_lo, s2, v128
	s_wait_alu depctr_va_vcc(0)
	v_add_co_ci_u32_e64 v147, null, s3, v129, vcc_lo
	.loc	1 102 21 is_stmt 1              ; attention_bwd.py:102:21 @[ attention_bwd.py:253:40 ]
	s_cbranch_scc1 .LBB0_146
; %bb.145:
	.loc	1 93 49                         ; attention_bwd.py:93:49 @[ attention_bwd.py:253:40 ]
	s_lshl_b64 s[4:5], s[6:7], 1
	s_wait_alu depctr_sa_sdst(0)
	v_add_co_u32 v64, vcc_lo, v146, s4
	s_wait_alu depctr_va_vcc(0)
	v_add_co_ci_u32_e64 v65, null, s5, v147, vcc_lo
	.loc	1 102 21                        ; attention_bwd.py:102:21 @[ attention_bwd.py:253:40 ]
	global_load_u16 v131, v[64:65], off
.LBB0_146:
	s_wait_alu depctr_sa_sdst(0)
	v_cndmask_b32_e64 v64, 0, 1, s18
	v_readlane_b32 s48, v251, 3
	v_readlane_b32 s50, v251, 5
	v_readlane_b32 s51, v251, 6
	v_readlane_b32 s2, v250, 21
	v_readlane_b32 s20, v252, 20
	v_readlane_b32 s34, v250, 19
	v_readlane_b32 s36, v250, 17
	v_readlane_b32 s38, v250, 15
	v_readlane_b32 s40, v250, 13
	v_readlane_b32 s42, v250, 11
	v_readlane_b32 s44, v250, 9
	v_readlane_b32 s12, v250, 7
	v_cmp_ne_u32_e64 s0, 1, v64
	v_readlane_b32 s3, v250, 22
	v_readlane_b32 s21, v252, 21
	;; [unrolled: 1-line block ×9, first 2 shown]
	s_and_not1_b32 vcc_lo, exec_lo, s18
	s_mov_b64 s[14:15], s[50:51]
	v_readlane_b32 s49, v251, 4
	v_readlane_b32 s52, v251, 7
	;; [unrolled: 1-line block ×5, first 2 shown]
	s_wait_alu depctr_sa_sdst(0)
	s_cbranch_vccnz .LBB0_148
; %bb.147:
	.loc	1 93 49                         ; attention_bwd.py:93:49 @[ attention_bwd.py:253:40 ]
	s_lshl_b64 s[4:5], s[10:11], 1
	s_wait_alu depctr_sa_sdst(0)
	v_add_co_u32 v64, vcc_lo, v146, s4
	s_wait_alu depctr_va_vcc(0)
	v_add_co_ci_u32_e64 v65, null, s5, v147, vcc_lo
	.loc	1 102 21                        ; attention_bwd.py:102:21 @[ attention_bwd.py:253:40 ]
	global_load_u16 v130, v[64:65], off
.LBB0_148:
	.loc	1 0 21 is_stmt 0                ; attention_bwd.py:0:21
	v_readlane_b32 s28, v252, 12
	v_readlane_b32 s30, v252, 14
	v_dual_mov_b32 v132, 0 :: v_dual_mov_b32 v133, 0
	v_readlane_b32 s29, v252, 13
	v_readlane_b32 s31, v252, 15
	;; [unrolled: 1-line block ×3, first 2 shown]
	.loc	1 102 21                        ; attention_bwd.py:102:21 @[ attention_bwd.py:253:40 ]
	s_and_b32 vcc_lo, exec_lo, s0
	v_readlane_b32 s19, v250, 6
	s_wait_alu depctr_sa_sdst(0)
	s_cbranch_vccnz .LBB0_150
; %bb.149:
	.loc	1 93 49 is_stmt 1               ; attention_bwd.py:93:49 @[ attention_bwd.py:253:40 ]
	s_lshl_b64 s[4:5], s[20:21], 1
	s_wait_alu depctr_sa_sdst(0)
	v_add_co_u32 v64, vcc_lo, v146, s4
	s_wait_alu depctr_va_vcc(0)
	v_add_co_ci_u32_e64 v65, null, s5, v147, vcc_lo
	.loc	1 102 21                        ; attention_bwd.py:102:21 @[ attention_bwd.py:253:40 ]
	global_load_u16 v133, v[64:65], off
.LBB0_150:
	s_and_b32 vcc_lo, exec_lo, s0
	s_wait_alu depctr_sa_sdst(0)
	s_cbranch_vccnz .LBB0_152
; %bb.151:
	.loc	1 93 49                         ; attention_bwd.py:93:49 @[ attention_bwd.py:253:40 ]
	s_lshl_b64 s[4:5], s[22:23], 1
	s_wait_alu depctr_sa_sdst(0)
	v_add_co_u32 v64, vcc_lo, v146, s4
	s_wait_alu depctr_va_vcc(0)
	v_add_co_ci_u32_e64 v65, null, s5, v147, vcc_lo
	.loc	1 102 21                        ; attention_bwd.py:102:21 @[ attention_bwd.py:253:40 ]
	global_load_u16 v132, v[64:65], off
.LBB0_152:
	.loc	1 0 21 is_stmt 0                ; attention_bwd.py:0:21
	v_dual_mov_b32 v134, 0 :: v_dual_mov_b32 v135, 0
	.loc	1 102 21                        ; attention_bwd.py:102:21 @[ attention_bwd.py:253:40 ]
	s_and_b32 vcc_lo, exec_lo, s0
	s_wait_alu depctr_sa_sdst(0)
	s_cbranch_vccnz .LBB0_154
; %bb.153:
	.loc	1 93 49 is_stmt 1               ; attention_bwd.py:93:49 @[ attention_bwd.py:253:40 ]
	s_lshl_b64 s[4:5], s[24:25], 1
	s_wait_alu depctr_sa_sdst(0)
	v_add_co_u32 v64, vcc_lo, v146, s4
	s_wait_alu depctr_va_vcc(0)
	v_add_co_ci_u32_e64 v65, null, s5, v147, vcc_lo
	.loc	1 102 21                        ; attention_bwd.py:102:21 @[ attention_bwd.py:253:40 ]
	global_load_u16 v135, v[64:65], off
.LBB0_154:
	s_and_b32 vcc_lo, exec_lo, s0
	s_wait_alu depctr_sa_sdst(0)
	s_cbranch_vccnz .LBB0_156
; %bb.155:
	.loc	1 93 49                         ; attention_bwd.py:93:49 @[ attention_bwd.py:253:40 ]
	s_lshl_b64 s[4:5], s[26:27], 1
	s_wait_alu depctr_sa_sdst(0)
	v_add_co_u32 v64, vcc_lo, v146, s4
	s_wait_alu depctr_va_vcc(0)
	v_add_co_ci_u32_e64 v65, null, s5, v147, vcc_lo
	.loc	1 102 21                        ; attention_bwd.py:102:21 @[ attention_bwd.py:253:40 ]
	global_load_u16 v134, v[64:65], off
.LBB0_156:
	.loc	1 0 21 is_stmt 0                ; attention_bwd.py:0:21
	v_dual_mov_b32 v136, 0 :: v_dual_mov_b32 v137, 0
	.loc	1 102 21                        ; attention_bwd.py:102:21 @[ attention_bwd.py:253:40 ]
	s_and_b32 vcc_lo, exec_lo, s0
	;; [unrolled: 29-line block ×6, first 2 shown]
	s_wait_alu depctr_sa_sdst(0)
	s_cbranch_vccnz .LBB0_174
; %bb.173:
	.loc	1 93 49 is_stmt 1               ; attention_bwd.py:93:49 @[ attention_bwd.py:253:40 ]
	s_lshl_b64 s[4:5], s[12:13], 1
	s_wait_alu depctr_sa_sdst(0)
	v_add_co_u32 v64, vcc_lo, v146, s4
	s_wait_alu depctr_va_vcc(0)
	v_add_co_ci_u32_e64 v65, null, s5, v147, vcc_lo
	.loc	1 102 21                        ; attention_bwd.py:102:21 @[ attention_bwd.py:253:40 ]
	global_load_u16 v145, v[64:65], off
.LBB0_174:
	s_and_b32 vcc_lo, exec_lo, s0
	s_wait_alu depctr_sa_sdst(0)
	s_cbranch_vccnz .LBB0_176
; %bb.175:
	.loc	1 93 49                         ; attention_bwd.py:93:49 @[ attention_bwd.py:253:40 ]
	v_readlane_b32 s4, v250, 2
	v_readlane_b32 s5, v250, 3
	s_lshl_b64 s[4:5], s[4:5], 1
	s_wait_alu depctr_sa_sdst(0)
	v_add_co_u32 v64, vcc_lo, v146, s4
	s_wait_alu depctr_va_vcc(0)
	v_add_co_ci_u32_e64 v65, null, s5, v147, vcc_lo
	.loc	1 102 21                        ; attention_bwd.py:102:21 @[ attention_bwd.py:253:40 ]
	global_load_u16 v144, v[64:65], off
.LBB0_176:
	.loc	1 94 18                         ; attention_bwd.py:94:18 @[ attention_bwd.py:253:40 ]
	v_add_co_u32 v152, vcc_lo, s2, v128
	s_wait_alu depctr_va_vcc(0)
	v_add_co_ci_u32_e64 v153, null, s3, v129, vcc_lo
	v_dual_mov_b32 v146, 0 :: v_dual_mov_b32 v147, 0
	.loc	1 103 21                        ; attention_bwd.py:103:21 @[ attention_bwd.py:253:40 ]
	s_and_b32 vcc_lo, exec_lo, s0
	s_wait_alu depctr_sa_sdst(0)
	s_cbranch_vccnz .LBB0_178
; %bb.177:
	.loc	1 94 49                         ; attention_bwd.py:94:49 @[ attention_bwd.py:253:40 ]
	s_lshl_b64 s[4:5], s[6:7], 1
	s_wait_alu depctr_sa_sdst(0)
	v_add_co_u32 v64, vcc_lo, v152, s4
	s_wait_alu depctr_va_vcc(0)
	v_add_co_ci_u32_e64 v65, null, s5, v153, vcc_lo
	.loc	1 103 21                        ; attention_bwd.py:103:21 @[ attention_bwd.py:253:40 ]
	global_load_u16 v147, v[64:65], off
.LBB0_178:
	s_and_b32 vcc_lo, exec_lo, s0
	s_wait_alu depctr_sa_sdst(0)
	s_cbranch_vccnz .LBB0_180
; %bb.179:
	.loc	1 94 49                         ; attention_bwd.py:94:49 @[ attention_bwd.py:253:40 ]
	s_lshl_b64 s[4:5], s[10:11], 1
	s_wait_alu depctr_sa_sdst(0)
	v_add_co_u32 v64, vcc_lo, v152, s4
	s_wait_alu depctr_va_vcc(0)
	v_add_co_ci_u32_e64 v65, null, s5, v153, vcc_lo
	.loc	1 103 21                        ; attention_bwd.py:103:21 @[ attention_bwd.py:253:40 ]
	global_load_u16 v146, v[64:65], off
.LBB0_180:
	.loc	1 0 21 is_stmt 0                ; attention_bwd.py:0:21
	v_dual_mov_b32 v148, 0 :: v_dual_mov_b32 v149, 0
	.loc	1 103 21                        ; attention_bwd.py:103:21 @[ attention_bwd.py:253:40 ]
	s_and_b32 vcc_lo, exec_lo, s0
	s_wait_alu depctr_sa_sdst(0)
	s_cbranch_vccnz .LBB0_182
; %bb.181:
	.loc	1 94 49 is_stmt 1               ; attention_bwd.py:94:49 @[ attention_bwd.py:253:40 ]
	s_lshl_b64 s[4:5], s[20:21], 1
	s_wait_alu depctr_sa_sdst(0)
	v_add_co_u32 v64, vcc_lo, v152, s4
	s_wait_alu depctr_va_vcc(0)
	v_add_co_ci_u32_e64 v65, null, s5, v153, vcc_lo
	.loc	1 103 21                        ; attention_bwd.py:103:21 @[ attention_bwd.py:253:40 ]
	global_load_u16 v149, v[64:65], off
.LBB0_182:
	s_and_b32 vcc_lo, exec_lo, s0
	s_wait_alu depctr_sa_sdst(0)
	s_cbranch_vccnz .LBB0_184
; %bb.183:
	.loc	1 94 49                         ; attention_bwd.py:94:49 @[ attention_bwd.py:253:40 ]
	s_lshl_b64 s[4:5], s[22:23], 1
	s_wait_alu depctr_sa_sdst(0)
	v_add_co_u32 v64, vcc_lo, v152, s4
	s_wait_alu depctr_va_vcc(0)
	v_add_co_ci_u32_e64 v65, null, s5, v153, vcc_lo
	.loc	1 103 21                        ; attention_bwd.py:103:21 @[ attention_bwd.py:253:40 ]
	global_load_u16 v148, v[64:65], off
.LBB0_184:
	.loc	1 0 21 is_stmt 0                ; attention_bwd.py:0:21
	v_dual_mov_b32 v150, 0 :: v_dual_mov_b32 v151, 0
	.loc	1 103 21                        ; attention_bwd.py:103:21 @[ attention_bwd.py:253:40 ]
	s_and_b32 vcc_lo, exec_lo, s0
	s_wait_alu depctr_sa_sdst(0)
	s_cbranch_vccnz .LBB0_186
; %bb.185:
	.loc	1 94 49 is_stmt 1               ; attention_bwd.py:94:49 @[ attention_bwd.py:253:40 ]
	s_lshl_b64 s[4:5], s[24:25], 1
	s_wait_alu depctr_sa_sdst(0)
	v_add_co_u32 v64, vcc_lo, v152, s4
	s_wait_alu depctr_va_vcc(0)
	v_add_co_ci_u32_e64 v65, null, s5, v153, vcc_lo
	.loc	1 103 21                        ; attention_bwd.py:103:21 @[ attention_bwd.py:253:40 ]
	global_load_u16 v151, v[64:65], off
.LBB0_186:
	;; [unrolled: 29-line block ×7, first 2 shown]
	s_and_b32 vcc_lo, exec_lo, s0
	s_wait_alu depctr_sa_sdst(0)
	s_cbranch_vccnz .LBB0_208
; %bb.207:
	.loc	1 94 49                         ; attention_bwd.py:94:49 @[ attention_bwd.py:253:40 ]
	v_readlane_b32 s2, v250, 2
	v_readlane_b32 s3, v250, 3
	s_lshl_b64 s[4:5], s[2:3], 1
	s_wait_alu depctr_sa_sdst(0)
	v_add_co_u32 v64, vcc_lo, v152, s4
	s_wait_alu depctr_va_vcc(0)
	v_add_co_ci_u32_e64 v65, null, s5, v153, vcc_lo
	.loc	1 103 21                        ; attention_bwd.py:103:21 @[ attention_bwd.py:253:40 ]
	global_load_u16 v162, v[64:65], off
.LBB0_208:
	.loc	1 102 21                        ; attention_bwd.py:102:21 @[ attention_bwd.py:253:40 ]
	s_wait_loadcnt 0x0
	s_barrier_signal -1
	.loc	1 101 25                        ; attention_bwd.py:101:25 @[ attention_bwd.py:253:40 ]
	s_cmp_lt_i32 s1, 2
	.loc	1 102 21                        ; attention_bwd.py:102:21 @[ attention_bwd.py:253:40 ]
	s_barrier_wait -1
	global_inv scope:SCOPE_SE
	ds_store_b16 v244, v131
	ds_store_b16 v244, v130 offset:256
	ds_store_b16 v244, v133 offset:512
	;; [unrolled: 1-line block ×15, first 2 shown]
	.loc	1 103 21                        ; attention_bwd.py:103:21 @[ attention_bwd.py:253:40 ]
	ds_store_b16 v244, v147 offset:4096
	ds_store_b16 v244, v146 offset:4352
	;; [unrolled: 1-line block ×16, first 2 shown]
	.loc	1 101 25                        ; attention_bwd.py:101:25 @[ attention_bwd.py:253:40 ]
	s_cbranch_scc1 .LBB0_212
; %bb.209:                              ; %.lr.ph1652
	.loc	1 0 25 is_stmt 0                ; attention_bwd.py:0:25
	s_clause 0xc                            ; 196-byte Folded Spill
	scratch_store_b128 off, v[103:106], off offset:840
	scratch_store_b128 off, v[124:127], off offset:824
	;; [unrolled: 1-line block ×11, first 2 shown]
	scratch_store_b32 off, v230, off offset:1016
	scratch_store_b128 off, v[235:238], off offset:952
	s_clause 0xb                            ; 192-byte Folded Reload
	scratch_load_b128 v[152:155], off, off offset:824
	scratch_load_b128 v[188:191], off, off offset:952
	;; [unrolled: 1-line block ×12, first 2 shown]
	.loc	1 101 25                        ; attention_bwd.py:101:25 @[ attention_bwd.py:253:40 ]
	v_readlane_b32 s2, v250, 2
	v_readlane_b32 s3, v250, 3
	s_ashr_i32 s19, s18, 31
	s_lshl_b64 s[12:13], s[12:13], 1
	s_wait_alu depctr_sa_sdst(0)
	s_lshl_b64 s[18:19], s[18:19], 1
	s_add_co_i32 s1, s1, -1
	s_lshl_b64 s[4:5], s[2:3], 1
	s_lshl_b64 s[2:3], s[6:7], 1
	s_wait_alu depctr_sa_sdst(0)
	s_add_nc_u64 s[4:5], s[18:19], s[4:5]
	s_add_nc_u64 s[2:3], s[18:19], s[2:3]
	s_wait_alu depctr_sa_sdst(0)
	v_add_co_u32 v64, vcc_lo, s4, v128
	s_wait_alu depctr_va_vcc(0)
	v_add_co_ci_u32_e64 v65, null, s5, v129, vcc_lo
	s_add_nc_u64 s[4:5], s[18:19], s[12:13]
	v_add_co_u32 v164, vcc_lo, s8, v64
	s_wait_alu depctr_va_vcc(0)
	v_add_co_ci_u32_e64 v97, null, s9, v65, vcc_lo
	s_wait_alu depctr_sa_sdst(0)
	v_add_co_u32 v66, vcc_lo, s4, v128
	s_wait_alu depctr_va_vcc(0)
	v_add_co_ci_u32_e64 v67, null, s5, v129, vcc_lo
	s_lshl_b64 s[4:5], s[44:45], 1
	v_add_co_u32 v98, vcc_lo, s8, v66
	s_wait_alu depctr_sa_sdst(0)
	s_add_nc_u64 s[4:5], s[18:19], s[4:5]
	s_wait_alu depctr_va_vcc(0)
	v_add_co_ci_u32_e64 v162, null, s9, v67, vcc_lo
	s_wait_alu depctr_sa_sdst(0)
	v_add_co_u32 v68, vcc_lo, s4, v128
	s_wait_alu depctr_va_vcc(0)
	v_add_co_ci_u32_e64 v69, null, s5, v129, vcc_lo
	s_lshl_b64 s[4:5], s[42:43], 1
	v_add_co_u32 v233, vcc_lo, s8, v68
	s_wait_alu depctr_sa_sdst(0)
	s_add_nc_u64 s[4:5], s[18:19], s[4:5]
	;; [unrolled: 10-line block ×13, first 2 shown]
	s_wait_alu depctr_va_vcc(0)
	v_add_co_ci_u32_e64 v141, null, s9, v91, vcc_lo
	s_wait_alu depctr_sa_sdst(0)
	v_add_co_u32 v92, vcc_lo, s4, v128
	s_wait_alu depctr_va_vcc(0)
	v_add_co_ci_u32_e64 v93, null, s5, v129, vcc_lo
	v_readlane_b32 s4, v252, 8
	v_readlane_b32 s6, v252, 10
	;; [unrolled: 1-line block ×3, first 2 shown]
	v_add_co_u32 v94, vcc_lo, s2, v128
	s_wait_alu depctr_va_vcc(0)
	v_add_co_ci_u32_e64 v95, null, s3, v129, vcc_lo
	s_mov_b64 s[2:3], s[6:7]
	v_readlane_b32 s5, v252, 9
	s_wait_alu depctr_sa_sdst(0)
	v_add_co_u32 v128, vcc_lo, s2, v64
	s_wait_alu depctr_va_vcc(0)
	v_add_co_ci_u32_e64 v129, null, s3, v65, vcc_lo
	v_add_co_u32 v66, vcc_lo, s2, v66
	s_wait_alu depctr_va_vcc(0)
	v_add_co_ci_u32_e64 v67, null, s3, v67, vcc_lo
	;; [unrolled: 3-line block ×18, first 2 shown]
.LBB0_210:                              ; =>This Inner Loop Header: Depth=1
	.loc	1 120 19 is_stmt 1              ; attention_bwd.py:120:19 @[ attention_bwd.py:253:40 ]
	s_clause 0x1f                           ; 128-byte Folded Spill
	scratch_store_b32 off, v125, off offset:736
	scratch_store_b32 off, v89, off offset:704
	;; [unrolled: 1-line block ×7, first 2 shown]
	scratch_store_b32 off, v64, off
	scratch_store_b32 off, v144, off offset:544
	scratch_store_b32 off, v143, off offset:512
	scratch_store_b32 off, v142, off offset:480
	scratch_store_b32 off, v79, off offset:448
	scratch_store_b32 off, v78, off offset:416
	scratch_store_b32 off, v77, off offset:384
	scratch_store_b32 off, v76, off offset:368
	scratch_store_b32 off, v75, off offset:364
	scratch_store_b32 off, v74, off offset:360
	scratch_store_b32 off, v73, off offset:356
	scratch_store_b32 off, v72, off offset:324
	scratch_store_b32 off, v69, off offset:292
	scratch_store_b32 off, v68, off offset:260
	scratch_store_b32 off, v67, off offset:256
	scratch_store_b32 off, v66, off offset:240
	scratch_store_b32 off, v129, off offset:224
	scratch_store_b32 off, v128, off offset:208
	scratch_store_b32 off, v141, off offset:192
	scratch_store_b32 off, v140, off offset:176
	scratch_store_b32 off, v139, off offset:160
	scratch_store_b32 off, v138, off offset:144
	scratch_store_b32 off, v137, off offset:128
	scratch_store_b32 off, v136, off offset:112
	scratch_store_b32 off, v135, off offset:96
	s_clause 0x3                            ; 16-byte Folded Spill
	scratch_store_b32 off, v134, off offset:80
	scratch_store_b32 off, v132, off offset:64
	;; [unrolled: 1-line block ×4, first 2 shown]
	s_clause 0x1                            ; 8-byte Folded Reload
	scratch_load_b32 v64, off, off
	scratch_load_b32 v65, off, off offset:16
	v_dual_mov_b32 v200, v84 :: v_dual_mov_b32 v197, v81
	v_dual_mov_b32 v198, v82 :: v_dual_mov_b32 v201, v85
	v_mov_b32_e32 v202, v86
	.loc	1 101 25                        ; attention_bwd.py:101:25 @[ attention_bwd.py:253:40 ]
	s_add_co_i32 s1, s1, -1
	v_dual_mov_b32 v196, v70 :: v_dual_mov_b32 v203, v87
	s_wait_alu depctr_sa_sdst(0)
	s_cmp_lg_u32 s1, 0
	v_mov_b32_e32 v199, v83
	v_mov_b32_e32 v125, v98
	;; [unrolled: 1-line block ×3, first 2 shown]
	v_dual_mov_b32 v151, v123 :: v_dual_mov_b32 v214, v118
	v_dual_mov_b32 v213, v117 :: v_dual_mov_b32 v148, v120
	v_mov_b32_e32 v212, v116
	v_dual_mov_b32 v150, v122 :: v_dual_mov_b32 v149, v121
	.loc	1 120 19                        ; attention_bwd.py:120:19 @[ attention_bwd.py:253:40 ]
	s_wait_loadcnt 0x1
	v_add_co_u32 v64, vcc_lo, v64, s16
	s_wait_loadcnt 0x0
	s_wait_alu depctr_va_vcc(0)
	v_add_co_ci_u32_e64 v65, null, s17, v65, vcc_lo
	.loc	1 102 21                        ; attention_bwd.py:102:21 @[ attention_bwd.py:253:40 ]
	global_load_u16 v64, v[64:65], off
	.loc	1 120 19                        ; attention_bwd.py:120:19 @[ attention_bwd.py:253:40 ]
	s_wait_loadcnt 0x0
	scratch_store_b32 off, v64, off offset:752 ; 4-byte Folded Spill
	v_add_co_u32 v64, vcc_lo, v208, s16
	s_wait_alu depctr_va_vcc(0)
	v_add_co_ci_u32_e64 v65, null, s17, v209, vcc_lo
	.loc	1 102 21                        ; attention_bwd.py:102:21 @[ attention_bwd.py:253:40 ]
	global_load_u16 v64, v[64:65], off
	.loc	1 120 19                        ; attention_bwd.py:120:19 @[ attention_bwd.py:253:40 ]
	s_wait_loadcnt 0x0
	scratch_store_b32 off, v64, off offset:764 ; 4-byte Folded Spill
	v_add_co_u32 v64, vcc_lo, v146, s16
	;; [unrolled: 8-line block ×15, first 2 shown]
	s_wait_alu depctr_va_vcc(0)
	v_add_co_ci_u32_e64 v65, null, s17, v129, vcc_lo
	.loc	1 102 21                        ; attention_bwd.py:102:21 @[ attention_bwd.py:253:40 ]
	global_load_u16 v64, v[64:65], off
	.loc	1 117 25                        ; attention_bwd.py:117:25 @[ attention_bwd.py:253:40 ]
	s_wait_loadcnt 0x0
	scratch_store_b32 off, v64, off offset:820 ; 4-byte Folded Spill
	s_wait_storecnt_dscnt 0x0
	s_barrier_signal -1
	s_barrier_wait -1
	global_inv scope:SCOPE_SE
	.loc	1 102 21                        ; attention_bwd.py:102:21 @[ attention_bwd.py:253:40 ]
	ds_load_u16 v129, v229 offset:128
	ds_load_u16 v128, v229
	ds_load_u16 v130, v229 offset:256
	ds_load_u16 v131, v229 offset:384
	;; [unrolled: 1-line block ×11, first 2 shown]
	.loc	1 103 21                        ; attention_bwd.py:103:21 @[ attention_bwd.py:253:40 ]
	ds_load_u16 v144, v229 offset:4096
	ds_load_u16 v146, v229 offset:4352
	.loc	1 102 21                        ; attention_bwd.py:102:21 @[ attention_bwd.py:253:40 ]
	ds_load_u16 v139, v229 offset:2432
	ds_load_u16 v140, v229 offset:3072
	;; [unrolled: 1-line block ×7, first 2 shown]
	s_wait_dscnt 0x4
	ds_load_u16_d16_hi v247, v229 offset:2400
	ds_load_u16_d16_hi v134, v229 offset:1344
	.loc	1 103 21                        ; attention_bwd.py:103:21 @[ attention_bwd.py:253:40 ]
	ds_load_u16 v68, v229 offset:4128
	s_wait_dscnt 0x0
	ds_load_u16_d16_hi v68, v229 offset:4192
	.loc	1 102 21                        ; attention_bwd.py:102:21 @[ attention_bwd.py:253:40 ]
	ds_load_u16_d16_hi v140, v229 offset:3136
	ds_load_u16_d16_hi v133, v229 offset:1216
	;; [unrolled: 1-line block ×3, first 2 shown]
	ds_load_u16 v75, v229 offset:416
	ds_load_u16 v72, v229 offset:32
	ds_load_u16_d16_hi v129, v229 offset:192
	ds_load_u16_d16_hi v128, v229 offset:64
	ds_load_u16 v74, v229 offset:288
	ds_load_u16 v73, v229 offset:160
	ds_load_u16_d16_hi v135, v229 offset:1472
	ds_load_u16 v245, v229 offset:2080
	ds_load_u16 v67, v229 offset:1440
	;; [unrolled: 1-line block ×4, first 2 shown]
	ds_load_u16_d16_hi v141, v229 offset:3264
	ds_load_u16 v79, v229 offset:3488
	ds_load_u16 v78, v229 offset:3360
	;; [unrolled: 1-line block ×4, first 2 shown]
	ds_load_u16_d16_hi v132, v229 offset:1088
	ds_load_u16_d16_hi v130, v229 offset:320
	;; [unrolled: 1-line block ×3, first 2 shown]
	s_wait_dscnt 0x12
	ds_load_u16_d16_hi v75, v229 offset:480
	ds_load_u16_d16_hi v138, v229 offset:2368
	;; [unrolled: 1-line block ×8, first 2 shown]
	.loc	1 103 21                        ; attention_bwd.py:103:21 @[ attention_bwd.py:253:40 ]
	ds_load_u16 v69, v229 offset:4256
	.loc	1 102 21                        ; attention_bwd.py:102:21 @[ attention_bwd.py:253:40 ]
	s_wait_dscnt 0xf
	ds_load_u16_d16_hi v79, v229 offset:3552
	ds_load_u16_d16_hi v72, v229 offset:96
	;; [unrolled: 1-line block ×9, first 2 shown]
	s_wait_dscnt 0x15
	ds_load_u16_d16_hi v76, v229 offset:3168
	ds_load_u16_d16_hi v78, v229 offset:3424
	;; [unrolled: 1-line block ×3, first 2 shown]
	.loc	1 103 21                        ; attention_bwd.py:103:21 @[ attention_bwd.py:253:40 ]
	ds_load_u16 v87, v229 offset:6560
	ds_load_u16 v86, v229 offset:6432
	.loc	1 104 23                        ; attention_bwd.py:104:23 @[ attention_bwd.py:253:40 ]
	s_wait_dscnt 0x17
	v_wmma_f32_16x16x16_f16 v[234:241], v[128:131], v[152:155], 0
	s_delay_alu instid0(VALU_DEP_1) | instskip(SKIP_1) | instid1(VALU_DEP_1)
	v_wmma_f32_16x16x16_f16 v[234:241], v[132:135], v[188:191], v[234:241]
	s_wait_dscnt 0x12
	v_wmma_f32_16x16x16_f16 v[234:241], v[136:139], v[116:119], v[234:241]
	s_wait_dscnt 0xf
	s_delay_alu instid0(VALU_DEP_1) | instskip(NEXT) | instid1(VALU_DEP_1)
	v_wmma_f32_16x16x16_f16 v[234:241], v[140:143], v[108:111], v[234:241]
	.loc	1 105 30                        ; attention_bwd.py:105:30 @[ attention_bwd.py:253:40 ]
	v_sub_f32_e32 v88, v234, v231
	s_delay_alu instid0(VALU_DEP_2) | instskip(NEXT) | instid1(VALU_DEP_3)
	v_sub_f32_e32 v89, v235, v231
	v_sub_f32_e32 v90, v236, v231
	s_delay_alu instid0(VALU_DEP_4)
	v_sub_f32_e32 v91, v237, v231
	v_sub_f32_e32 v92, v238, v231
	;; [unrolled: 1-line block ×5, first 2 shown]
	.loc	1 104 23                        ; attention_bwd.py:104:23 @[ attention_bwd.py:253:40 ]
	v_wmma_f32_16x16x16_f16 v[234:241], v[128:131], v[220:223], 0
	s_delay_alu instid0(VALU_DEP_1) | instskip(NEXT) | instid1(VALU_DEP_1)
	v_wmma_f32_16x16x16_f16 v[234:241], v[132:135], v[225:228], v[234:241]
	v_wmma_f32_16x16x16_f16 v[234:241], v[136:139], v[120:123], v[234:241]
	v_dual_mov_b32 v120, v111 :: v_dual_mov_b32 v119, v110
	v_mov_b32_e32 v118, v109
	v_mov_b32_e32 v124, v115
	s_delay_alu instid0(VALU_DEP_4) | instskip(SKIP_2) | instid1(VALU_DEP_3)
	v_wmma_f32_16x16x16_f16 v[234:241], v[140:143], v[112:115], v[234:241]
	v_dual_mov_b32 v126, v101 :: v_dual_mov_b32 v123, v114
	v_mov_b32_e32 v122, v113
	.loc	1 105 30                        ; attention_bwd.py:105:30 @[ attention_bwd.py:253:40 ]
	v_sub_f32_e32 v242, v234, v232
	s_delay_alu instid0(VALU_DEP_4)
	v_sub_f32_e32 v243, v235, v232
	v_sub_f32_e32 v249, v236, v232
	;; [unrolled: 1-line block ×5, first 2 shown]
	.loc	1 103 21                        ; attention_bwd.py:103:21 @[ attention_bwd.py:253:40 ]
	ds_load_u16 v145, v229 offset:4224
	ds_load_u16 v147, v229 offset:4480
	;; [unrolled: 1-line block ×15, first 2 shown]
	ds_load_u16_d16_hi v144, v229 offset:4160
	s_wait_dscnt 0xf
	ds_load_u16_d16_hi v145, v229 offset:4288
	s_wait_dscnt 0x3
	ds_load_u16_d16_hi v240, v229 offset:5472
	ds_load_u16_d16_hi v146, v229 offset:4416
	ds_load_u16 v80, v229 offset:7200
	.loc	1 105 30                        ; attention_bwd.py:105:30 @[ attention_bwd.py:253:40 ]
	v_sub_f32_e32 v101, v238, v232
	v_sub_f32_e32 v104, v241, v232
	.loc	1 103 21                        ; attention_bwd.py:103:21 @[ attention_bwd.py:253:40 ]
	s_wait_dscnt 0x0
	ds_load_u16_d16_hi v80, v229 offset:7264
	ds_load_u16 v141, v229 offset:6272
	ds_load_u16_d16_hi v140, v229 offset:6208
	ds_load_u16_d16_hi v147, v229 offset:4544
	ds_load_u16 v238, v229 offset:5152
	ds_load_u16 v71, v229 offset:4512
	;; [unrolled: 1-line block ×3, first 2 shown]
	ds_load_u16_d16_hi v136, v229 offset:5184
	ds_load_u16_d16_hi v137, v229 offset:5312
	;; [unrolled: 1-line block ×4, first 2 shown]
	ds_load_u16 v241, v229 offset:5536
	ds_load_u16 v84, v229 offset:6176
	ds_load_u16_d16_hi v142, v229 offset:6464
	ds_load_u16_d16_hi v143, v229 offset:6592
	;; [unrolled: 1-line block ×4, first 2 shown]
	ds_load_u16 v81, v229 offset:7328
	ds_load_u16_d16_hi v236, v229 offset:7488
	ds_load_u16 v82, v229 offset:7456
	ds_load_u16_d16_hi v237, v229 offset:7616
	ds_load_u16 v85, v229 offset:6304
	s_wait_dscnt 0x14
	ds_load_u16_d16_hi v141, v229 offset:6336
	ds_load_u16_d16_hi v69, v229 offset:4320
	s_wait_dscnt 0x11
	ds_load_u16_d16_hi v70, v229 offset:4448
	ds_load_u16_d16_hi v238, v229 offset:5216
	;; [unrolled: 1-line block ×3, first 2 shown]
	s_wait_dscnt 0xf
	ds_load_u16_d16_hi v241, v229 offset:5600
	ds_load_u16_d16_hi v87, v229 offset:6624
	s_wait_dscnt 0x10
	ds_load_u16_d16_hi v84, v229 offset:6240
	.loc	1 112 24                        ; attention_bwd.py:112:24 @[ attention_bwd.py:253:40 ]
	v_wmma_f32_16x16x16_f16 v[128:135], v[144:147], v[216:219], 0
	.loc	1 105 25                        ; attention_bwd.py:105:25 @[ attention_bwd.py:253:40 ]
	v_exp_f32_e32 v88, v88
	v_exp_f32_e32 v90, v90
	;; [unrolled: 1-line block ×3, first 2 shown]
	s_delay_alu instid0(VALU_DEP_1)
	.loc	1 112 24                        ; attention_bwd.py:112:24 @[ attention_bwd.py:253:40 ]
	v_wmma_f32_16x16x16_f16 v[128:135], v[136:139], v[204:207], v[128:135]
	.loc	1 105 25                        ; attention_bwd.py:105:25 @[ attention_bwd.py:253:40 ]
	v_exp_f32_e32 v100, v100
	.loc	1 103 21                        ; attention_bwd.py:103:21 @[ attention_bwd.py:253:40 ]
	ds_load_u16 v83, v229 offset:7584
	ds_load_u16_d16_hi v239, v229 offset:5344
	ds_load_u16_d16_hi v86, v229 offset:6496
	s_wait_dscnt 0xb
	ds_load_u16_d16_hi v85, v229 offset:6368
	.loc	1 112 24                        ; attention_bwd.py:112:24 @[ attention_bwd.py:253:40 ]
	s_wait_dscnt 0xb
	v_wmma_f32_16x16x16_f16 v[128:135], v[140:143], v[174:177], v[128:135]
	.loc	1 103 21                        ; attention_bwd.py:103:21 @[ attention_bwd.py:253:40 ]
	ds_load_u16_d16_hi v81, v229 offset:7392
	ds_load_u16_d16_hi v82, v229 offset:7520
	s_wait_dscnt 0x5
	ds_load_u16_d16_hi v83, v229 offset:7648
	.loc	1 112 24                        ; attention_bwd.py:112:24 @[ attention_bwd.py:253:40 ]
	v_wmma_f32_16x16x16_f16 v[128:135], v[234:237], v[165:168], v[128:135]
	v_dual_mov_b32 v230, v127 :: v_dual_mov_b32 v127, v97
	s_delay_alu instid0(VALU_DEP_2) | instskip(NEXT) | instid1(VALU_DEP_3)
	v_dual_mov_b32 v117, v108 :: v_dual_sub_f32 v108, v135, v210
	.loc	1 113 23                        ; attention_bwd.py:113:23 @[ attention_bwd.py:253:40 ]
	v_sub_f32_e32 v96, v128, v210
	s_delay_alu instid0(VALU_DEP_4)
	v_sub_f32_e32 v98, v130, v210
	v_sub_f32_e32 v106, v133, v210
	;; [unrolled: 1-line block ×6, first 2 shown]
	.loc	1 112 24                        ; attention_bwd.py:112:24 @[ attention_bwd.py:253:40 ]
	v_wmma_f32_16x16x16_f16 v[128:135], v[144:147], v[182:185], 0
	s_delay_alu instid0(VALU_DEP_1) | instskip(NEXT) | instid1(VALU_DEP_1)
	v_wmma_f32_16x16x16_f16 v[128:135], v[136:139], v[192:195], v[128:135]
	v_wmma_f32_16x16x16_f16 v[128:135], v[140:143], v[178:181], v[128:135]
	s_delay_alu instid0(VALU_DEP_1) | instskip(NEXT) | instid1(VALU_DEP_1)
	v_wmma_f32_16x16x16_f16 v[128:135], v[234:237], v[170:173], v[128:135]
	v_dual_mov_b32 v121, v112 :: v_dual_sub_f32 v112, v131, v211
	s_delay_alu instid0(VALU_DEP_2)
	.loc	1 113 23                        ; attention_bwd.py:113:23 @[ attention_bwd.py:253:40 ]
	v_sub_f32_e32 v109, v128, v211
	.loc	1 114 19                        ; attention_bwd.py:114:19 @[ attention_bwd.py:253:40 ]
	v_fma_mixlo_f16 v128, v88, v96, 0
	scratch_load_b32 v96, off, off offset:1016 ; 4-byte Folded Reload
	.loc	1 105 25                        ; attention_bwd.py:105:25 @[ attention_bwd.py:253:40 ]
	v_exp_f32_e32 v88, v92
	.loc	1 113 23                        ; attention_bwd.py:113:23 @[ attention_bwd.py:253:40 ]
	v_sub_f32_e32 v111, v130, v211
	v_sub_f32_e32 v110, v129, v211
	.loc	1 114 19                        ; attention_bwd.py:114:19 @[ attention_bwd.py:253:40 ]
	v_fma_mixlo_f16 v129, v90, v98, 0
	.loc	1 113 23                        ; attention_bwd.py:113:23 @[ attention_bwd.py:253:40 ]
	v_sub_f32_e32 v113, v132, v211
	v_sub_f32_e32 v114, v133, v211
	v_sub_f32_e32 v115, v134, v211
	v_sub_f32_e32 v116, v135, v211
	.loc	1 117 25                        ; attention_bwd.py:117:25 @[ attention_bwd.py:253:40 ]
	s_wait_loadcnt 0x0
	ds_load_b128 v[132:135], v96
	ds_load_b128 v[136:139], v96 offset:32
	.loc	1 114 19                        ; attention_bwd.py:114:19 @[ attention_bwd.py:253:40 ]
	v_fma_mixlo_f16 v130, v88, v105, 0
	.loc	1 105 25                        ; attention_bwd.py:105:25 @[ attention_bwd.py:253:40 ]
	v_exp_f32_e32 v88, v94
	.loc	1 117 25                        ; attention_bwd.py:117:25 @[ attention_bwd.py:253:40 ]
	ds_load_b128 v[140:143], v96 offset:1024
	ds_load_b128 v[144:147], v96 offset:1056
	.loc	1 105 25                        ; attention_bwd.py:105:25 @[ attention_bwd.py:253:40 ]
	v_exp_f32_e32 v105, v242
	.loc	1 114 19                        ; attention_bwd.py:114:19 @[ attention_bwd.py:253:40 ]
	v_fma_mixlo_f16 v131, v88, v107, 0
	.loc	1 105 25                        ; attention_bwd.py:105:25 @[ attention_bwd.py:253:40 ]
	v_exp_f32_e32 v88, v95
	s_delay_alu instid0(TRANS32_DEP_1) | instskip(SKIP_1) | instid1(TRANS32_DEP_1)
	.loc	1 117 25                        ; attention_bwd.py:117:25 @[ attention_bwd.py:253:40 ]
	v_fma_mixhi_f16 v131, v88, v108, 0
	.loc	1 105 25                        ; attention_bwd.py:105:25 @[ attention_bwd.py:253:40 ]
	v_exp_f32_e32 v88, v93
	.loc	1 117 25                        ; attention_bwd.py:117:25 @[ attention_bwd.py:253:40 ]
	v_fma_mixhi_f16 v130, v88, v106, 0
	.loc	1 105 25                        ; attention_bwd.py:105:25 @[ attention_bwd.py:253:40 ]
	v_exp_f32_e32 v88, v91
	v_exp_f32_e32 v106, v249
	s_delay_alu instid0(TRANS32_DEP_2) | instskip(SKIP_1) | instid1(TRANS32_DEP_1)
	.loc	1 117 25                        ; attention_bwd.py:117:25 @[ attention_bwd.py:253:40 ]
	v_fma_mixhi_f16 v129, v88, v99, 0
	.loc	1 105 25                        ; attention_bwd.py:105:25 @[ attention_bwd.py:253:40 ]
	v_exp_f32_e32 v88, v89
	.loc	1 117 25                        ; attention_bwd.py:117:25 @[ attention_bwd.py:253:40 ]
	v_fma_mixhi_f16 v128, v88, v97, 0
	ds_load_b128 v[234:237], v96 offset:2048
	ds_load_b128 v[88:91], v96 offset:2080
	ds_load_b128 v[92:95], v96 offset:3072
	ds_load_b128 v[96:99], v96 offset:3104
	s_wait_dscnt 0x7
	v_wmma_f32_16x16x16_f16 v[8:15], v[132:135], v[128:131], v[8:15]
	s_wait_dscnt 0x5
	v_wmma_f32_16x16x16_f16 v[16:23], v[140:143], v[128:131], v[16:23]
	;; [unrolled: 2-line block ×4, first 2 shown]
	.loc	1 114 19                        ; attention_bwd.py:114:19 @[ attention_bwd.py:253:40 ]
	v_fma_mixlo_f16 v129, v106, v111, 0
	v_fma_mixlo_f16 v130, v101, v113, 0
	.loc	1 105 25                        ; attention_bwd.py:105:25 @[ attention_bwd.py:253:40 ]
	v_exp_f32_e32 v101, v103
	.loc	1 114 19                        ; attention_bwd.py:114:19 @[ attention_bwd.py:253:40 ]
	v_fma_mixlo_f16 v128, v105, v109, 0
	s_delay_alu instid0(VALU_DEP_3) | instskip(SKIP_1) | instid1(TRANS32_DEP_1)
	.loc	1 117 25                        ; attention_bwd.py:117:25 @[ attention_bwd.py:253:40 ]
	v_fma_mixhi_f16 v129, v100, v112, 0
	.loc	1 105 25                        ; attention_bwd.py:105:25 @[ attention_bwd.py:253:40 ]
	v_exp_f32_e32 v100, v243
	.loc	1 117 25                        ; attention_bwd.py:117:25 @[ attention_bwd.py:253:40 ]
	v_fma_mixhi_f16 v128, v100, v110, 0
	v_mov_b32_e32 v108, v117
	s_delay_alu instid0(TRANS32_DEP_2) | instskip(SKIP_3) | instid1(TRANS32_DEP_1)
	.loc	1 114 19                        ; attention_bwd.py:114:19 @[ attention_bwd.py:253:40 ]
	v_fma_mixlo_f16 v131, v101, v115, 0
	.loc	1 105 25                        ; attention_bwd.py:105:25 @[ attention_bwd.py:253:40 ]
	v_exp_f32_e32 v101, v104
	v_dual_mov_b32 v109, v118 :: v_dual_mov_b32 v110, v119
	v_mov_b32_e32 v111, v120
	.loc	1 117 25                        ; attention_bwd.py:117:25 @[ attention_bwd.py:253:40 ]
	v_fma_mixhi_f16 v131, v101, v116, 0
	.loc	1 105 25                        ; attention_bwd.py:105:25 @[ attention_bwd.py:253:40 ]
	v_exp_f32_e32 v101, v102
	v_dual_mov_b32 v116, v212 :: v_dual_mov_b32 v117, v213
	v_dual_mov_b32 v118, v214 :: v_dual_mov_b32 v119, v215
	s_delay_alu instid0(TRANS32_DEP_1) | instskip(SKIP_2) | instid1(VALU_DEP_3)
	.loc	1 117 25                        ; attention_bwd.py:117:25 @[ attention_bwd.py:253:40 ]
	v_fma_mixhi_f16 v130, v101, v114, 0
	v_dual_mov_b32 v112, v121 :: v_dual_mov_b32 v113, v122
	v_dual_mov_b32 v114, v123 :: v_dual_mov_b32 v115, v124
	v_wmma_f32_16x16x16_f16 v[40:47], v[132:135], v[128:131], v[40:47]
	v_wmma_f32_16x16x16_f16 v[48:55], v[140:143], v[128:131], v[48:55]
	;; [unrolled: 1-line block ×4, first 2 shown]
	.loc	1 104 23                        ; attention_bwd.py:104:23 @[ attention_bwd.py:253:40 ]
	v_wmma_f32_16x16x16_f16 v[128:135], v[72:75], v[152:155], 0
	v_dual_mov_b32 v120, v148 :: v_dual_mov_b32 v121, v149
	v_dual_mov_b32 v122, v150 :: v_dual_mov_b32 v123, v151
	s_delay_alu instid0(VALU_DEP_3)
	v_wmma_f32_16x16x16_f16 v[128:135], v[64:67], v[188:191], v[128:135]
	s_clause 0x3                            ; 16-byte Folded Reload
	scratch_load_b32 v143, off, off offset:512 th:TH_LOAD_LU
	scratch_load_b32 v142, off, off offset:480 th:TH_LOAD_LU
	;; [unrolled: 1-line block ×4, first 2 shown]
	v_wmma_f32_16x16x16_f16 v[128:135], v[245:248], v[116:119], v[128:135]
	s_delay_alu instid0(VALU_DEP_1) | instskip(NEXT) | instid1(VALU_DEP_1)
	v_wmma_f32_16x16x16_f16 v[128:135], v[76:79], v[108:111], v[128:135]
	.loc	1 105 30                        ; attention_bwd.py:105:30 @[ attention_bwd.py:253:40 ]
	v_sub_f32_e32 v92, v128, v231
	s_delay_alu instid0(VALU_DEP_2) | instskip(NEXT) | instid1(VALU_DEP_3)
	v_sub_f32_e32 v93, v129, v231
	v_sub_f32_e32 v94, v130, v231
	s_delay_alu instid0(VALU_DEP_4)
	v_sub_f32_e32 v95, v131, v231
	v_sub_f32_e32 v100, v132, v231
	v_sub_f32_e32 v101, v133, v231
	v_sub_f32_e32 v102, v134, v231
	v_sub_f32_e32 v103, v135, v231
	.loc	1 104 23                        ; attention_bwd.py:104:23 @[ attention_bwd.py:253:40 ]
	v_wmma_f32_16x16x16_f16 v[128:135], v[72:75], v[220:223], 0
	s_delay_alu instid0(VALU_DEP_1) | instskip(NEXT) | instid1(VALU_DEP_1)
	v_wmma_f32_16x16x16_f16 v[128:135], v[64:67], v[225:228], v[128:135]
	v_wmma_f32_16x16x16_f16 v[128:135], v[245:248], v[120:123], v[128:135]
	s_delay_alu instid0(VALU_DEP_1) | instskip(NEXT) | instid1(VALU_DEP_1)
	v_wmma_f32_16x16x16_f16 v[128:135], v[76:79], v[112:115], v[128:135]
	.loc	1 105 30                        ; attention_bwd.py:105:30 @[ attention_bwd.py:253:40 ]
	v_sub_f32_e32 v72, v128, v232
	s_delay_alu instid0(VALU_DEP_2) | instskip(NEXT) | instid1(VALU_DEP_3)
	v_sub_f32_e32 v73, v129, v232
	v_sub_f32_e32 v74, v130, v232
	s_delay_alu instid0(VALU_DEP_4)
	v_sub_f32_e32 v75, v131, v232
	v_sub_f32_e32 v76, v132, v232
	v_sub_f32_e32 v77, v133, v232
	v_sub_f32_e32 v78, v134, v232
	v_sub_f32_e32 v79, v135, v232
	.loc	1 112 24                        ; attention_bwd.py:112:24 @[ attention_bwd.py:253:40 ]
	v_wmma_f32_16x16x16_f16 v[128:135], v[68:71], v[216:219], 0
	s_delay_alu instid0(VALU_DEP_1) | instskip(NEXT) | instid1(VALU_DEP_1)
	v_wmma_f32_16x16x16_f16 v[128:135], v[238:241], v[204:207], v[128:135]
	v_wmma_f32_16x16x16_f16 v[128:135], v[84:87], v[174:177], v[128:135]
	s_delay_alu instid0(VALU_DEP_1) | instskip(NEXT) | instid1(VALU_DEP_1)
	v_wmma_f32_16x16x16_f16 v[128:135], v[80:83], v[165:168], v[128:135]
	.loc	1 113 23                        ; attention_bwd.py:113:23 @[ attention_bwd.py:253:40 ]
	v_sub_f32_e32 v64, v128, v210
	s_delay_alu instid0(VALU_DEP_2) | instskip(NEXT) | instid1(VALU_DEP_3)
	v_sub_f32_e32 v104, v129, v210
	v_sub_f32_e32 v65, v130, v210
	s_delay_alu instid0(VALU_DEP_4)
	v_sub_f32_e32 v105, v131, v210
	v_sub_f32_e32 v66, v132, v210
	v_sub_f32_e32 v106, v133, v210
	v_sub_f32_e32 v67, v134, v210
	v_sub_f32_e32 v107, v135, v210
	.loc	1 112 24                        ; attention_bwd.py:112:24 @[ attention_bwd.py:253:40 ]
	v_wmma_f32_16x16x16_f16 v[128:135], v[68:71], v[182:185], 0
	s_delay_alu instid0(VALU_DEP_1) | instskip(NEXT) | instid1(VALU_DEP_1)
	v_wmma_f32_16x16x16_f16 v[128:135], v[238:241], v[192:195], v[128:135]
	v_wmma_f32_16x16x16_f16 v[128:135], v[84:87], v[178:181], v[128:135]
	.loc	1 105 25                        ; attention_bwd.py:105:25 @[ attention_bwd.py:253:40 ]
	v_exp_f32_e32 v84, v92
	v_mov_b32_e32 v87, v203
	v_exp_f32_e32 v85, v94
	v_mov_b32_e32 v86, v202
	.loc	1 112 24                        ; attention_bwd.py:112:24 @[ attention_bwd.py:253:40 ]
	v_wmma_f32_16x16x16_f16 v[128:135], v[80:83], v[170:173], v[128:135]
	s_delay_alu instid0(VALU_DEP_1) | instskip(NEXT) | instid1(TRANS32_DEP_2)
	.loc	1 113 23                        ; attention_bwd.py:113:23 @[ attention_bwd.py:253:40 ]
	v_sub_f32_e32 v69, v129, v211
	.loc	1 114 19                        ; attention_bwd.py:114:19 @[ attention_bwd.py:253:40 ]
	v_fma_mixlo_f16 v64, v84, v64, 0
	.loc	1 105 25                        ; attention_bwd.py:105:25 @[ attention_bwd.py:253:40 ]
	v_exp_f32_e32 v84, v100
	s_delay_alu instid0(VALU_DEP_3)
	.loc	1 113 23                        ; attention_bwd.py:113:23 @[ attention_bwd.py:253:40 ]
	v_sub_f32_e32 v80, v132, v211
	v_sub_f32_e32 v70, v130, v211
	;; [unrolled: 1-line block ×4, first 2 shown]
	.loc	1 114 19                        ; attention_bwd.py:114:19 @[ attention_bwd.py:253:40 ]
	v_fma_mixlo_f16 v65, v85, v65, 0
	.loc	1 113 23                        ; attention_bwd.py:113:23 @[ attention_bwd.py:253:40 ]
	v_sub_f32_e32 v71, v131, v211
	v_dual_sub_f32 v82, v134, v211 :: v_dual_mov_b32 v85, v201
	v_sub_f32_e32 v81, v133, v211
	s_delay_alu instid0(TRANS32_DEP_1)
	.loc	1 114 19                        ; attention_bwd.py:114:19 @[ attention_bwd.py:253:40 ]
	v_fma_mixlo_f16 v66, v84, v66, 0
	.loc	1 105 25                        ; attention_bwd.py:105:25 @[ attention_bwd.py:253:40 ]
	v_exp_f32_e32 v84, v102
	s_clause 0x5                            ; 24-byte Folded Reload
	scratch_load_b32 v128, off, off offset:208 th:TH_LOAD_LU
	scratch_load_b32 v129, off, off offset:224 th:TH_LOAD_LU
	;; [unrolled: 1-line block ×6, first 2 shown]
	.loc	1 114 19                        ; attention_bwd.py:114:19 @[ attention_bwd.py:253:40 ]
	v_fma_mixlo_f16 v67, v84, v67, 0
	.loc	1 105 25                        ; attention_bwd.py:105:25 @[ attention_bwd.py:253:40 ]
	v_exp_f32_e32 v84, v103
	s_delay_alu instid0(TRANS32_DEP_1) | instskip(SKIP_2) | instid1(TRANS32_DEP_1)
	.loc	1 117 25                        ; attention_bwd.py:117:25 @[ attention_bwd.py:253:40 ]
	v_fma_mixhi_f16 v67, v84, v107, 0
	.loc	1 105 25                        ; attention_bwd.py:105:25 @[ attention_bwd.py:253:40 ]
	v_exp_f32_e32 v84, v101
	v_mov_b32_e32 v101, v126
	.loc	1 117 25                        ; attention_bwd.py:117:25 @[ attention_bwd.py:253:40 ]
	v_fma_mixhi_f16 v66, v84, v106, 0
	.loc	1 105 25                        ; attention_bwd.py:105:25 @[ attention_bwd.py:253:40 ]
	v_exp_f32_e32 v84, v95
	s_delay_alu instid0(TRANS32_DEP_1) | instskip(SKIP_1) | instid1(TRANS32_DEP_1)
	.loc	1 117 25                        ; attention_bwd.py:117:25 @[ attention_bwd.py:253:40 ]
	v_fma_mixhi_f16 v65, v84, v105, 0
	.loc	1 105 25                        ; attention_bwd.py:105:25 @[ attention_bwd.py:253:40 ]
	v_exp_f32_e32 v84, v93
	.loc	1 117 25                        ; attention_bwd.py:117:25 @[ attention_bwd.py:253:40 ]
	v_fma_mixhi_f16 v64, v84, v104, 0
	v_mov_b32_e32 v84, v200
	s_delay_alu instid0(VALU_DEP_2)
	v_wmma_f32_16x16x16_f16 v[8:15], v[136:139], v[64:67], v[8:15]
	v_wmma_f32_16x16x16_f16 v[16:23], v[144:147], v[64:67], v[16:23]
	;; [unrolled: 1-line block ×3, first 2 shown]
	s_wait_dscnt 0x0
	v_wmma_f32_16x16x16_f16 v[32:39], v[96:99], v[64:67], v[32:39]
	.loc	1 105 25                        ; attention_bwd.py:105:25 @[ attention_bwd.py:253:40 ]
	v_exp_f32_e32 v64, v72
	v_exp_f32_e32 v67, v78
	;; [unrolled: 1-line block ×4, first 2 shown]
	.loc	1 114 19                        ; attention_bwd.py:114:19 @[ attention_bwd.py:253:40 ]
	v_fma_mixlo_f16 v64, v64, v68, 0
	.loc	1 105 25                        ; attention_bwd.py:105:25 @[ attention_bwd.py:253:40 ]
	v_exp_f32_e32 v68, v79
	.loc	1 114 19                        ; attention_bwd.py:114:19 @[ attention_bwd.py:253:40 ]
	v_fma_mixlo_f16 v67, v67, v82, 0
	s_delay_alu instid0(TRANS32_DEP_3) | instskip(NEXT) | instid1(TRANS32_DEP_2)
	v_fma_mixlo_f16 v66, v66, v80, 0
	v_fma_mixlo_f16 v65, v65, v70, 0
	v_mov_b32_e32 v82, v198
	s_delay_alu instid0(TRANS32_DEP_1) | instid1(VALU_DEP_4)
	.loc	1 117 25                        ; attention_bwd.py:117:25 @[ attention_bwd.py:253:40 ]
	v_fma_mixhi_f16 v67, v68, v83, 0
	.loc	1 105 25                        ; attention_bwd.py:105:25 @[ attention_bwd.py:253:40 ]
	v_exp_f32_e32 v68, v77
	v_mov_b32_e32 v83, v199
	s_delay_alu instid0(TRANS32_DEP_1) | instskip(SKIP_2) | instid1(TRANS32_DEP_1)
	.loc	1 117 25                        ; attention_bwd.py:117:25 @[ attention_bwd.py:253:40 ]
	v_fma_mixhi_f16 v66, v68, v81, 0
	.loc	1 105 25                        ; attention_bwd.py:105:25 @[ attention_bwd.py:253:40 ]
	v_exp_f32_e32 v68, v75
	v_mov_b32_e32 v81, v197
	.loc	1 117 25                        ; attention_bwd.py:117:25 @[ attention_bwd.py:253:40 ]
	v_fma_mixhi_f16 v65, v68, v71, 0
	.loc	1 105 25                        ; attention_bwd.py:105:25 @[ attention_bwd.py:253:40 ]
	v_exp_f32_e32 v68, v73
	s_delay_alu instid0(TRANS32_DEP_1) | instskip(NEXT) | instid1(VALU_DEP_1)
	.loc	1 117 25                        ; attention_bwd.py:117:25 @[ attention_bwd.py:253:40 ]
	v_fma_mixhi_f16 v64, v68, v69, 0
	v_wmma_f32_16x16x16_f16 v[48:55], v[144:147], v[64:67], v[48:55]
	s_clause 0x1                            ; 8-byte Folded Reload
	scratch_load_b32 v144, off, off offset:544 th:TH_LOAD_LU
	scratch_load_b32 v135, off, off offset:96 th:TH_LOAD_LU
	v_wmma_f32_16x16x16_f16 v[40:47], v[136:139], v[64:67], v[40:47]
	s_clause 0x3                            ; 16-byte Folded Reload
	scratch_load_b32 v139, off, off offset:160 th:TH_LOAD_LU
	scratch_load_b32 v138, off, off offset:144 th:TH_LOAD_LU
	;; [unrolled: 1-line block ×4, first 2 shown]
	v_wmma_f32_16x16x16_f16 v[0:7], v[96:99], v[64:67], v[0:7]
	v_mov_b32_e32 v98, v125
	scratch_load_b32 v125, off, off offset:736 th:TH_LOAD_LU ; 4-byte Folded Reload
	v_wmma_f32_16x16x16_f16 v[56:63], v[88:91], v[64:67], v[56:63]
	v_mov_b32_e32 v97, v127
	v_mov_b32_e32 v127, v230
	s_clause 0x2                            ; 12-byte Folded Reload
	scratch_load_b32 v90, off, off offset:640 th:TH_LOAD_LU
	scratch_load_b32 v146, off, off offset:608 th:TH_LOAD_LU
	;; [unrolled: 1-line block ×3, first 2 shown]
	.loc	1 121 19                        ; attention_bwd.py:121:19 @[ attention_bwd.py:253:40 ]
	s_wait_loadcnt 0x9
	v_add_co_u32 v64, vcc_lo, v144, s16
	s_wait_alu depctr_va_vcc(0)
	v_add_co_ci_u32_e64 v65, null, s17, v186, vcc_lo
	.loc	1 103 21                        ; attention_bwd.py:103:21 @[ attention_bwd.py:253:40 ]
	global_load_u16 v66, v[64:65], off
	.loc	1 121 19                        ; attention_bwd.py:121:19 @[ attention_bwd.py:253:40 ]
	v_add_co_u32 v64, vcc_lo, v142, s16
	s_wait_alu depctr_va_vcc(0)
	v_add_co_ci_u32_e64 v65, null, s17, v143, vcc_lo
	.loc	1 103 21                        ; attention_bwd.py:103:21 @[ attention_bwd.py:253:40 ]
	global_load_u16 v67, v[64:65], off
	.loc	1 121 19                        ; attention_bwd.py:121:19 @[ attention_bwd.py:253:40 ]
	v_add_co_u32 v64, vcc_lo, v140, s16
	s_wait_alu depctr_va_vcc(0)
	v_add_co_ci_u32_e64 v65, null, s17, v141, vcc_lo
	.loc	1 103 21                        ; attention_bwd.py:103:21 @[ attention_bwd.py:253:40 ]
	global_load_u16 v68, v[64:65], off
	.loc	1 121 19                        ; attention_bwd.py:121:19 @[ attention_bwd.py:253:40 ]
	s_wait_loadcnt 0x9
	v_add_co_u32 v64, vcc_lo, v138, s16
	s_wait_alu depctr_va_vcc(0)
	v_add_co_ci_u32_e64 v65, null, s17, v139, vcc_lo
	.loc	1 103 21                        ; attention_bwd.py:103:21 @[ attention_bwd.py:253:40 ]
	global_load_u16 v69, v[64:65], off
	.loc	1 121 19                        ; attention_bwd.py:121:19 @[ attention_bwd.py:253:40 ]
	s_wait_loadcnt 0x8
	v_add_co_u32 v64, vcc_lo, v136, s16
	s_wait_alu depctr_va_vcc(0)
	v_add_co_ci_u32_e64 v65, null, s17, v137, vcc_lo
	.loc	1 103 21                        ; attention_bwd.py:103:21 @[ attention_bwd.py:253:40 ]
	global_load_u16 v70, v[64:65], off
	.loc	1 121 19                        ; attention_bwd.py:121:19 @[ attention_bwd.py:253:40 ]
	v_add_co_u32 v64, vcc_lo, v134, s16
	s_wait_alu depctr_va_vcc(0)
	v_add_co_ci_u32_e64 v65, null, s17, v135, vcc_lo
	.loc	1 103 21                        ; attention_bwd.py:103:21 @[ attention_bwd.py:253:40 ]
	global_load_u16 v71, v[64:65], off
	.loc	1 121 19                        ; attention_bwd.py:121:19 @[ attention_bwd.py:253:40 ]
	;; [unrolled: 6-line block ×5, first 2 shown]
	v_add_co_u32 v64, vcc_lo, v161, s16
	s_wait_loadcnt 0xc
	s_wait_alu depctr_va_vcc(0)
	v_add_co_ci_u32_e64 v65, null, s17, v125, vcc_lo
	.loc	1 103 21                        ; attention_bwd.py:103:21 @[ attention_bwd.py:253:40 ]
	global_load_u16 v75, v[64:65], off
	.loc	1 121 19                        ; attention_bwd.py:121:19 @[ attention_bwd.py:253:40 ]
	v_add_co_u32 v64, vcc_lo, v159, s16
	s_wait_alu depctr_va_vcc(0)
	v_add_co_ci_u32_e64 v65, null, s17, v160, vcc_lo
	.loc	1 103 21                        ; attention_bwd.py:103:21 @[ attention_bwd.py:253:40 ]
	global_load_u16 v76, v[64:65], off
	.loc	1 121 19                        ; attention_bwd.py:121:19 @[ attention_bwd.py:253:40 ]
	v_add_co_u32 v64, vcc_lo, v157, s16
	;; [unrolled: 6-line block ×6, first 2 shown]
	s_wait_alu depctr_va_vcc(0)
	v_add_co_ci_u32_e64 v65, null, s17, v97, vcc_lo
	.loc	1 103 21                        ; attention_bwd.py:103:21 @[ attention_bwd.py:253:40 ]
	global_load_u16 v64, v[64:65], off
	scratch_load_b32 v65, off, off offset:16 th:TH_LOAD_LU ; 4-byte Folded Reload
	.loc	1 101 25                        ; attention_bwd.py:101:25 @[ attention_bwd.py:253:40 ]
	v_add_co_u32 v164, vcc_lo, v164, s18
	s_wait_alu depctr_va_vcc(0)
	v_add_co_ci_u32_e64 v97, null, s19, v97, vcc_lo
	v_add_co_u32 v98, vcc_lo, v98, s18
	s_wait_alu depctr_va_vcc(0)
	v_add_co_ci_u32_e64 v162, null, s19, v162, vcc_lo
	;; [unrolled: 3-line block ×17, first 2 shown]
	.loc	1 102 21                        ; attention_bwd.py:102:21 @[ attention_bwd.py:253:40 ]
	s_wait_loadcnt 0x0
	s_barrier_signal -1
	s_barrier_wait -1
	global_inv scope:SCOPE_SE
	scratch_load_b32 v91, off, off offset:752 th:TH_LOAD_LU ; 4-byte Folded Reload
	.loc	1 103 21                        ; attention_bwd.py:103:21 @[ attention_bwd.py:253:40 ]
	ds_store_b16 v244, v71 offset:5376
	scratch_load_b32 v71, off, off offset:672 th:TH_LOAD_LU ; 4-byte Folded Reload
	ds_store_b16 v244, v67 offset:4352
	ds_store_b16 v244, v68 offset:4608
	;; [unrolled: 1-line block ×4, first 2 shown]
	v_mov_b32_e32 v70, v196
	ds_store_b16 v244, v72 offset:5632
	ds_store_b16 v244, v73 offset:5888
	;; [unrolled: 1-line block ×4, first 2 shown]
	scratch_load_b32 v75, off, off offset:364 th:TH_LOAD_LU ; 4-byte Folded Reload
	ds_store_b16 v244, v76 offset:6656
	scratch_load_b32 v76, off, off offset:368 th:TH_LOAD_LU ; 4-byte Folded Reload
	ds_store_b16 v244, v77 offset:6912
	;; [unrolled: 2-line block ×6, first 2 shown]
	s_clause 0x6                            ; 28-byte Folded Reload
	scratch_load_b32 v67, off, off offset:256 th:TH_LOAD_LU
	scratch_load_b32 v68, off, off offset:260 th:TH_LOAD_LU
	scratch_load_b32 v69, off, off offset:292 th:TH_LOAD_LU
	scratch_load_b32 v72, off, off offset:324 th:TH_LOAD_LU
	scratch_load_b32 v73, off, off offset:356 th:TH_LOAD_LU
	scratch_load_b32 v74, off, off offset:360 th:TH_LOAD_LU
	scratch_load_b32 v64, off, off th:TH_LOAD_LU
	.loc	1 102 21                        ; attention_bwd.py:102:21 @[ attention_bwd.py:253:40 ]
	s_wait_loadcnt 0xe
	ds_store_b16 v244, v91
	scratch_load_b32 v91, off, off offset:764 th:TH_LOAD_LU ; 4-byte Folded Reload
	s_wait_loadcnt 0x0
	ds_store_b16 v244, v91 offset:256
	scratch_load_b32 v91, off, off offset:768 th:TH_LOAD_LU ; 4-byte Folded Reload
	s_wait_loadcnt 0x0
	ds_store_b16 v244, v91 offset:512
	;; [unrolled: 3-line block ×15, first 2 shown]
	.loc	1 103 21                        ; attention_bwd.py:103:21 @[ attention_bwd.py:253:40 ]
	ds_store_b16 v244, v66 offset:4096
	scratch_load_b32 v66, off, off offset:240 th:TH_LOAD_LU ; 4-byte Folded Reload
	.loc	1 101 25                        ; attention_bwd.py:101:25 @[ attention_bwd.py:253:40 ]
	s_wait_loadcnt 0x0
	v_add_co_u32 v66, vcc_lo, v66, s18
	s_wait_alu depctr_va_vcc(0)
	v_add_co_ci_u32_e64 v67, null, s19, v67, vcc_lo
	v_add_co_u32 v68, vcc_lo, v68, s18
	s_wait_alu depctr_va_vcc(0)
	v_add_co_ci_u32_e64 v69, null, s19, v69, vcc_lo
	;; [unrolled: 3-line block ×15, first 2 shown]
	s_cbranch_scc1 .LBB0_210
; %bb.211:                              ; %Flow
	.loc	1 0 25 is_stmt 0                ; attention_bwd.py:0:25
	s_clause 0xc                            ; 196-byte Folded Reload
	scratch_load_b128 v[192:195], off, off offset:872
	scratch_load_b128 v[196:199], off, off offset:888
	;; [unrolled: 1-line block ×8, first 2 shown]
	scratch_load_b32 v230, off, off offset:1016
	scratch_load_b128 v[103:106], off, off offset:840
	scratch_load_b128 v[124:127], off, off offset:824
	;; [unrolled: 1-line block ×4, first 2 shown]
.LBB0_212:                              ; %._crit_edge1653
	.loc	1 117 25 is_stmt 1              ; attention_bwd.py:117:25 @[ attention_bwd.py:253:40 ]
	s_wait_loadcnt_dscnt 0x0
	s_barrier_signal -1
	.loc	1 104 23                        ; attention_bwd.py:104:23 @[ attention_bwd.py:253:40 ]
	s_and_b32 vcc_lo, exec_lo, s0
	.loc	1 117 25                        ; attention_bwd.py:117:25 @[ attention_bwd.py:253:40 ]
	s_barrier_wait -1
	global_inv scope:SCOPE_SE
	.loc	1 104 23                        ; attention_bwd.py:104:23 @[ attention_bwd.py:253:40 ]
	s_wait_alu depctr_sa_sdst(0)
	s_cbranch_vccnz .LBB0_214
; %bb.213:
	.loc	1 102 21                        ; attention_bwd.py:102:21 @[ attention_bwd.py:253:40 ]
	ds_load_u16 v64, v229 offset:1024
	ds_load_u16 v71, v229 offset:416
	;; [unrolled: 1-line block ×11, first 2 shown]
	s_wait_dscnt 0xa
	ds_load_u16_d16_hi v64, v229 offset:1088
	ds_load_u16 v73, v229 offset:128
	ds_load_u16 v75, v229 offset:384
	;; [unrolled: 1-line block ×8, first 2 shown]
	s_wait_dscnt 0x12
	ds_load_u16_d16_hi v71, v229 offset:480
	ds_load_u16 v74, v229 offset:256
	ds_load_u16 v72, v229
	s_wait_dscnt 0xa
	ds_load_u16_d16_hi v73, v229 offset:192
	ds_load_u16_d16_hi v68, v229 offset:96
	;; [unrolled: 1-line block ×4, first 2 shown]
	s_wait_dscnt 0xd
	ds_load_u16_d16_hi v75, v229 offset:448
	ds_load_u16 v80, v229 offset:2048
	ds_load_u16 v81, v229 offset:2176
	s_wait_dscnt 0xf
	ds_load_u16_d16_hi v66, v229 offset:1344
	s_wait_dscnt 0xe
	ds_load_u16_d16_hi v77, v229 offset:1248
	;; [unrolled: 2-line block ×5, first 2 shown]
	ds_load_u16_d16_hi v65, v229 offset:1216
	s_wait_dscnt 0x7
	ds_load_u16_d16_hi v80, v229 offset:2112
	ds_load_u16 v84, v229 offset:2080
	ds_load_u16_d16_hi v67, v229 offset:1472
	ds_load_u16_d16_hi v74, v229 offset:320
	;; [unrolled: 1-line block ×3, first 2 shown]
	.loc	1 104 23                        ; attention_bwd.py:104:23 @[ attention_bwd.py:253:40 ]
	v_wmma_f32_16x16x16_f16 v[128:135], v[68:71], v[103:106], 0
	v_wmma_f32_16x16x16_f16 v[136:143], v[68:71], v[124:127], 0
	s_wait_dscnt 0x6
	s_delay_alu instid0(VALU_DEP_2) | instskip(NEXT) | instid1(VALU_DEP_2)
	v_wmma_f32_16x16x16_f16 v[128:135], v[76:79], v[220:223], v[128:135]
	v_wmma_f32_16x16x16_f16 v[136:143], v[76:79], v[235:238], v[136:143]
	s_wait_dscnt 0x0
	v_wmma_f32_16x16x16_f16 v[144:151], v[72:75], v[124:127], 0
	v_wmma_f32_16x16x16_f16 v[152:159], v[72:75], v[103:106], 0
	s_delay_alu instid0(VALU_DEP_2) | instskip(NEXT) | instid1(VALU_DEP_2)
	v_wmma_f32_16x16x16_f16 v[144:151], v[64:67], v[235:238], v[144:151]
	v_wmma_f32_16x16x16_f16 v[152:159], v[64:67], v[220:223], v[152:159]
	.loc	1 102 21                        ; attention_bwd.py:102:21 @[ attention_bwd.py:253:40 ]
	ds_load_u16_d16_hi v83, v229 offset:2496
	ds_load_u16 v64, v229 offset:3072
	ds_load_u16_d16_hi v86, v229 offset:2400
	ds_load_u16_d16_hi v87, v229 offset:2528
	;; [unrolled: 1-line block ×6, first 2 shown]
	ds_load_u16 v66, v229 offset:3328
	ds_load_u16 v65, v229 offset:3200
	;; [unrolled: 1-line block ×3, first 2 shown]
	.loc	1 103 21                        ; attention_bwd.py:103:21 @[ attention_bwd.py:253:40 ]
	ds_load_u16 v72, v229 offset:4096
	.loc	1 102 21                        ; attention_bwd.py:102:21 @[ attention_bwd.py:253:40 ]
	ds_load_u16 v70, v229 offset:3360
	ds_load_u16 v69, v229 offset:3232
	s_wait_dscnt 0xc
	ds_load_u16_d16_hi v64, v229 offset:3136
	ds_load_u16 v68, v229 offset:3104
	.loc	1 103 21                        ; attention_bwd.py:103:21 @[ attention_bwd.py:253:40 ]
	s_wait_dscnt 0x4
	ds_load_u16_d16_hi v72, v229 offset:4160
	.loc	1 102 21                        ; attention_bwd.py:102:21 @[ attention_bwd.py:253:40 ]
	ds_load_u16 v67, v229 offset:3456
	ds_load_u16_d16_hi v71, v229 offset:3552
	ds_load_u16_d16_hi v65, v229 offset:3264
	s_wait_dscnt 0x4
	ds_load_u16_d16_hi v68, v229 offset:3168
	ds_load_u16_d16_hi v70, v229 offset:3424
	;; [unrolled: 1-line block ×3, first 2 shown]
	.loc	1 104 23                        ; attention_bwd.py:104:23 @[ attention_bwd.py:253:40 ]
	v_wmma_f32_16x16x16_f16 v[128:135], v[84:87], v[120:123], v[128:135]
	v_wmma_f32_16x16x16_f16 v[136:143], v[84:87], v[116:119], v[136:143]
	;; [unrolled: 1-line block ×4, first 2 shown]
	.loc	1 102 21                        ; attention_bwd.py:102:21 @[ attention_bwd.py:253:40 ]
	s_wait_dscnt 0x5
	ds_load_u16_d16_hi v67, v229 offset:3520
	.loc	1 103 21                        ; attention_bwd.py:103:21 @[ attention_bwd.py:253:40 ]
	ds_load_u16 v75, v229 offset:4480
	ds_load_u16 v76, v229 offset:4128
	;; [unrolled: 1-line block ×3, first 2 shown]
	.loc	1 102 21                        ; attention_bwd.py:102:21 @[ attention_bwd.py:253:40 ]
	ds_load_u16_d16_hi v66, v229 offset:3392
	.loc	1 104 23                        ; attention_bwd.py:104:23 @[ attention_bwd.py:253:40 ]
	s_wait_dscnt 0x5
	v_wmma_f32_16x16x16_f16 v[128:135], v[68:71], v[112:115], v[128:135]
	v_wmma_f32_16x16x16_f16 v[136:143], v[68:71], v[108:111], v[136:143]
	s_delay_alu instid0(VALU_DEP_1) | instskip(NEXT) | instid1(VALU_DEP_3)
	.loc	1 105 30                        ; attention_bwd.py:105:30 @[ attention_bwd.py:253:40 ]
	v_dual_sub_f32 v96, v135, v232 :: v_dual_sub_f32 v105, v141, v231
	v_sub_f32_e32 v100, v134, v232
	s_delay_alu instid0(VALU_DEP_3)
	v_dual_sub_f32 v97, v133, v232 :: v_dual_sub_f32 v104, v143, v231
	v_sub_f32_e32 v103, v132, v232
	v_sub_f32_e32 v98, v131, v232
	v_dual_sub_f32 v101, v130, v232 :: v_dual_sub_f32 v106, v139, v231
	v_sub_f32_e32 v99, v129, v232
	.loc	1 104 23                        ; attention_bwd.py:104:23 @[ attention_bwd.py:253:40 ]
	s_wait_dscnt 0x0
	v_wmma_f32_16x16x16_f16 v[144:151], v[64:67], v[108:111], v[144:151]
	v_wmma_f32_16x16x16_f16 v[152:159], v[64:67], v[112:115], v[152:159]
	.loc	1 103 21                        ; attention_bwd.py:103:21 @[ attention_bwd.py:253:40 ]
	ds_load_u16 v78, v229 offset:4384
	ds_load_u16 v74, v229 offset:4352
	;; [unrolled: 1-line block ×13, first 2 shown]
	.loc	1 105 30                        ; attention_bwd.py:105:30 @[ attention_bwd.py:253:40 ]
	v_dual_sub_f32 v102, v128, v232 :: v_dual_sub_f32 v107, v137, v231
	v_sub_f32_e32 v108, v142, v231
	v_dual_sub_f32 v156, v156, v232 :: v_dual_sub_f32 v93, v146, v231
	v_dual_sub_f32 v114, v155, v232 :: v_dual_sub_f32 v95, v144, v231
	;; [unrolled: 1-line block ×3, first 2 shown]
	v_sub_f32_e32 v111, v140, v231
	v_sub_f32_e32 v109, v138, v231
	;; [unrolled: 1-line block ×3, first 2 shown]
	.loc	1 103 21                        ; attention_bwd.py:103:21 @[ attention_bwd.py:253:40 ]
	s_wait_dscnt 0x2
	ds_load_u16_d16_hi v80, v229 offset:6208
	ds_load_u16 v67, v229 offset:5504
	ds_load_u16_d16_hi v76, v229 offset:4192
	ds_load_u16_d16_hi v75, v229 offset:4544
	;; [unrolled: 1-line block ×4, first 2 shown]
	ds_load_u16 v66, v229 offset:5376
	ds_load_u16_d16_hi v64, v229 offset:5184
	ds_load_u16_d16_hi v79, v229 offset:4576
	;; [unrolled: 1-line block ×9, first 2 shown]
	.loc	1 105 30                        ; attention_bwd.py:105:30 @[ attention_bwd.py:253:40 ]
	v_sub_f32_e32 v94, v145, v231
	v_dual_sub_f32 v112, v159, v232 :: v_dual_sub_f32 v89, v150, v231
	v_dual_sub_f32 v158, v158, v232 :: v_dual_sub_f32 v91, v148, v231
	.loc	1 103 21                        ; attention_bwd.py:103:21 @[ attention_bwd.py:253:40 ]
	s_wait_dscnt 0xe
	ds_load_u16_d16_hi v67, v229 offset:5568
	ds_load_u16 v83, v229 offset:6528
	ds_load_u16 v84, v229 offset:6176
	;; [unrolled: 1-line block ×3, first 2 shown]
	s_wait_dscnt 0xd
	ds_load_u16_d16_hi v66, v229 offset:5440
	.loc	1 105 30                        ; attention_bwd.py:105:30 @[ attention_bwd.py:253:40 ]
	v_dual_sub_f32 v113, v157, v232 :: v_dual_sub_f32 v88, v151, v231
	.loc	1 112 24                        ; attention_bwd.py:112:24 @[ attention_bwd.py:253:40 ]
	s_wait_dscnt 0xc
	v_wmma_f32_16x16x16_f16 v[116:123], v[76:79], v[204:207], 0
	v_wmma_f32_16x16x16_f16 v[124:131], v[76:79], v[212:215], 0
	.loc	1 105 25                        ; attention_bwd.py:105:25 @[ attention_bwd.py:253:40 ]
	v_exp_f32_e32 v112, v112
	.loc	1 112 24                        ; attention_bwd.py:112:24 @[ attention_bwd.py:253:40 ]
	s_wait_dscnt 0x7
	s_delay_alu instid0(VALU_DEP_2)
	v_wmma_f32_16x16x16_f16 v[116:123], v[68:71], v[225:228], v[116:123]
	s_wait_dscnt 0x5
	v_wmma_f32_16x16x16_f16 v[132:139], v[72:75], v[212:215], 0
	v_wmma_f32_16x16x16_f16 v[140:147], v[72:75], v[204:207], 0
	;; [unrolled: 1-line block ×3, first 2 shown]
	.loc	1 105 25                        ; attention_bwd.py:105:25 @[ attention_bwd.py:253:40 ]
	v_exp_f32_e32 v74, v91
	.loc	1 112 24                        ; attention_bwd.py:112:24 @[ attention_bwd.py:253:40 ]
	s_wait_dscnt 0x0
	v_wmma_f32_16x16x16_f16 v[132:139], v[64:67], v[239:242], v[132:139]
	v_wmma_f32_16x16x16_f16 v[140:147], v[64:67], v[225:228], v[140:147]
	.loc	1 103 21                        ; attention_bwd.py:103:21 @[ attention_bwd.py:253:40 ]
	ds_load_u16 v86, v229 offset:6432
	ds_load_u16 v87, v229 offset:6560
	ds_load_u16_d16_hi v83, v229 offset:6592
	ds_load_u16 v64, v229 offset:7168
	ds_load_u16 v71, v229 offset:7584
	ds_load_u16 v67, v229 offset:7552
	ds_load_u16 v65, v229 offset:7296
	ds_load_u16 v69, v229 offset:7328
	ds_load_u16 v70, v229 offset:7456
	ds_load_u16 v66, v229 offset:7424
	s_wait_dscnt 0x9
	ds_load_u16_d16_hi v86, v229 offset:6496
	s_wait_dscnt 0x9
	ds_load_u16_d16_hi v87, v229 offset:6624
	ds_load_u16_d16_hi v84, v229 offset:6240
	;; [unrolled: 1-line block ×5, first 2 shown]
	s_wait_dscnt 0xc
	ds_load_u16_d16_hi v64, v229 offset:7232
	ds_load_u16 v68, v229 offset:7200
	s_wait_dscnt 0xd
	ds_load_u16_d16_hi v71, v229 offset:7648
	s_wait_dscnt 0xc
	ds_load_u16_d16_hi v65, v229 offset:7360
	s_wait_dscnt 0x2
	ds_load_u16_d16_hi v68, v229 offset:7264
	ds_load_u16_d16_hi v69, v229 offset:7392
	ds_load_u16_d16_hi v70, v229 offset:7520
	;; [unrolled: 1-line block ×4, first 2 shown]
	.loc	1 112 24                        ; attention_bwd.py:112:24 @[ attention_bwd.py:253:40 ]
	v_wmma_f32_16x16x16_f16 v[116:123], v[84:87], v[216:219], v[116:123]
	v_wmma_f32_16x16x16_f16 v[132:139], v[80:83], v[200:203], v[132:139]
	;; [unrolled: 1-line block ×4, first 2 shown]
	.loc	1 117 25                        ; attention_bwd.py:117:25 @[ attention_bwd.py:253:40 ]
	ds_load_b128 v[76:79], v230 offset:1024
	ds_load_b128 v[80:83], v230 offset:1056
	.loc	1 112 24                        ; attention_bwd.py:112:24 @[ attention_bwd.py:253:40 ]
	s_wait_dscnt 0x4
	v_wmma_f32_16x16x16_f16 v[116:123], v[68:71], v[196:199], v[116:123]
	v_wmma_f32_16x16x16_f16 v[124:131], v[68:71], v[192:195], v[124:131]
	s_wait_dscnt 0x2
	v_wmma_f32_16x16x16_f16 v[132:139], v[64:67], v[192:195], v[132:139]
	v_wmma_f32_16x16x16_f16 v[140:147], v[64:67], v[196:199], v[140:147]
	.loc	1 105 25                        ; attention_bwd.py:105:25 @[ attention_bwd.py:253:40 ]
	v_exp_f32_e32 v66, v89
	.loc	1 105 30 is_stmt 0              ; attention_bwd.py:105:30 @[ attention_bwd.py:253:40 ]
	v_sub_f32_e32 v90, v149, v231
	s_delay_alu instid0(VALU_DEP_3) | instskip(SKIP_4) | instid1(TRANS32_DEP_1)
	.loc	1 113 23 is_stmt 1              ; attention_bwd.py:113:23 @[ attention_bwd.py:253:40 ]
	v_dual_sub_f32 v149, v116, v211 :: v_dual_sub_f32 v64, v138, v210
	v_sub_f32_e32 v65, v136, v210
	v_sub_f32_e32 v69, v134, v210
	v_dual_sub_f32 v151, v117, v211 :: v_dual_sub_f32 v68, v139, v210
	v_dual_sub_f32 v147, v147, v211 :: v_dual_sub_f32 v70, v137, v210
	.loc	1 114 19                        ; attention_bwd.py:114:19 @[ attention_bwd.py:253:40 ]
	v_fma_mixlo_f16 v67, v64, v66, 0
	.loc	1 105 25                        ; attention_bwd.py:105:25 @[ attention_bwd.py:253:40 ]
	v_exp_f32_e32 v64, v93
	.loc	1 114 19                        ; attention_bwd.py:114:19 @[ attention_bwd.py:253:40 ]
	v_fma_mixlo_f16 v66, v65, v74, 0
	.loc	1 113 23                        ; attention_bwd.py:113:23 @[ attention_bwd.py:253:40 ]
	v_dual_sub_f32 v145, v145, v211 :: v_dual_sub_f32 v72, v135, v210
	v_dual_sub_f32 v122, v122, v211 :: v_dual_sub_f32 v71, v132, v210
	;; [unrolled: 1-line block ×4, first 2 shown]
	s_delay_alu instid0(TRANS32_DEP_1)
	.loc	1 114 19                        ; attention_bwd.py:114:19 @[ attention_bwd.py:253:40 ]
	v_fma_mixlo_f16 v65, v69, v64, 0
	.loc	1 105 25                        ; attention_bwd.py:105:25 @[ attention_bwd.py:253:40 ]
	v_exp_f32_e32 v69, v88
	v_exp_f32_e32 v64, v95
	.loc	1 113 23                        ; attention_bwd.py:113:23 @[ attention_bwd.py:253:40 ]
	v_dual_sub_f32 v150, v119, v211 :: v_dual_sub_f32 v129, v129, v210
	v_dual_sub_f32 v146, v146, v211 :: v_dual_sub_f32 v127, v127, v210
	.loc	1 105 30                        ; attention_bwd.py:105:30 @[ attention_bwd.py:253:40 ]
	v_dual_sub_f32 v154, v154, v232 :: v_dual_sub_f32 v123, v123, v211
	.loc	1 113 23                        ; attention_bwd.py:113:23 @[ attention_bwd.py:253:40 ]
	v_dual_sub_f32 v144, v144, v211 :: v_dual_sub_f32 v125, v125, v210
	s_delay_alu instid0(TRANS32_DEP_2) | instskip(SKIP_1) | instid1(TRANS32_DEP_2)
	.loc	1 117 25                        ; attention_bwd.py:117:25 @[ attention_bwd.py:253:40 ]
	v_fma_mixhi_f16 v67, v68, v69, 0
	.loc	1 105 25                        ; attention_bwd.py:105:25 @[ attention_bwd.py:253:40 ]
	v_exp_f32_e32 v68, v90
	.loc	1 114 19                        ; attention_bwd.py:114:19 @[ attention_bwd.py:253:40 ]
	v_fma_mixlo_f16 v64, v71, v64, 0
	.loc	1 117 25                        ; attention_bwd.py:117:25 @[ attention_bwd.py:253:40 ]
	ds_load_b128 v[84:87], v230 offset:2048
	ds_load_b128 v[88:91], v230 offset:2080
	.loc	1 105 30                        ; attention_bwd.py:105:30 @[ attention_bwd.py:253:40 ]
	v_dual_sub_f32 v152, v152, v232 :: v_dual_sub_f32 v121, v121, v211
	.loc	1 113 23                        ; attention_bwd.py:113:23 @[ attention_bwd.py:253:40 ]
	v_sub_f32_e32 v142, v142, v211
	v_dual_sub_f32 v143, v143, v211 :: v_dual_sub_f32 v130, v130, v210
	v_sub_f32_e32 v140, v140, v211
	v_dual_sub_f32 v141, v141, v211 :: v_dual_sub_f32 v128, v128, v210
	.loc	1 117 25                        ; attention_bwd.py:117:25 @[ attention_bwd.py:253:40 ]
	v_fma_mixhi_f16 v66, v70, v68, 0
	.loc	1 105 25                        ; attention_bwd.py:105:25 @[ attention_bwd.py:253:40 ]
	v_exp_f32_e32 v68, v92
	.loc	1 113 23                        ; attention_bwd.py:113:23 @[ attention_bwd.py:253:40 ]
	v_sub_f32_e32 v126, v126, v210
	v_sub_f32_e32 v124, v124, v210
	s_delay_alu instid0(TRANS32_DEP_1)
	.loc	1 117 25                        ; attention_bwd.py:117:25 @[ attention_bwd.py:253:40 ]
	v_fma_mixhi_f16 v65, v72, v68, 0
	.loc	1 105 25                        ; attention_bwd.py:105:25 @[ attention_bwd.py:253:40 ]
	v_exp_f32_e32 v68, v94
	.loc	1 117 25                        ; attention_bwd.py:117:25 @[ attention_bwd.py:253:40 ]
	ds_load_b128 v[92:95], v230 offset:3072
	ds_load_b128 v[116:119], v230 offset:3104
	v_fma_mixhi_f16 v64, v73, v68, 0
	ds_load_b128 v[68:71], v230
	ds_load_b128 v[72:75], v230 offset:32
	s_wait_dscnt 0x7
	v_wmma_f32_16x16x16_f16 v[16:23], v[76:79], v[64:67], v[16:23]
	s_wait_dscnt 0x5
	v_wmma_f32_16x16x16_f16 v[24:31], v[84:87], v[64:67], v[24:31]
	;; [unrolled: 2-line block ×4, first 2 shown]
	.loc	1 105 25                        ; attention_bwd.py:105:25 @[ attention_bwd.py:253:40 ]
	v_exp_f32_e32 v64, v158
	v_exp_f32_e32 v65, v156
	s_delay_alu instid0(TRANS32_DEP_2) | instskip(NEXT) | instid1(TRANS32_DEP_1)
	.loc	1 114 19                        ; attention_bwd.py:114:19 @[ attention_bwd.py:253:40 ]
	v_fma_mixlo_f16 v67, v146, v64, 0
	v_fma_mixlo_f16 v66, v144, v65, 0
	.loc	1 105 25                        ; attention_bwd.py:105:25 @[ attention_bwd.py:253:40 ]
	v_exp_f32_e32 v64, v154
	s_delay_alu instid0(VALU_DEP_2) | instskip(SKIP_1) | instid1(TRANS32_DEP_2)
	.loc	1 117 25                        ; attention_bwd.py:117:25 @[ attention_bwd.py:253:40 ]
	v_fma_mixhi_f16 v67, v147, v112, 0
	.loc	1 105 25                        ; attention_bwd.py:105:25 @[ attention_bwd.py:253:40 ]
	v_exp_f32_e32 v112, v113
	.loc	1 114 19                        ; attention_bwd.py:114:19 @[ attention_bwd.py:253:40 ]
	v_fma_mixlo_f16 v65, v142, v64, 0
	.loc	1 105 25                        ; attention_bwd.py:105:25 @[ attention_bwd.py:253:40 ]
	v_exp_f32_e32 v64, v152
	s_delay_alu instid0(TRANS32_DEP_2) | instskip(SKIP_1) | instid1(TRANS32_DEP_2)
	.loc	1 117 25                        ; attention_bwd.py:117:25 @[ attention_bwd.py:253:40 ]
	v_fma_mixhi_f16 v66, v145, v112, 0
	.loc	1 105 25                        ; attention_bwd.py:105:25 @[ attention_bwd.py:253:40 ]
	v_exp_f32_e32 v112, v114
	.loc	1 114 19                        ; attention_bwd.py:114:19 @[ attention_bwd.py:253:40 ]
	v_fma_mixlo_f16 v64, v140, v64, 0
	s_delay_alu instid0(TRANS32_DEP_1) | instskip(SKIP_1) | instid1(TRANS32_DEP_1)
	.loc	1 117 25                        ; attention_bwd.py:117:25 @[ attention_bwd.py:253:40 ]
	v_fma_mixhi_f16 v65, v143, v112, 0
	.loc	1 105 25                        ; attention_bwd.py:105:25 @[ attention_bwd.py:253:40 ]
	v_exp_f32_e32 v112, v115
	.loc	1 117 25                        ; attention_bwd.py:117:25 @[ attention_bwd.py:253:40 ]
	v_fma_mixhi_f16 v64, v141, v112, 0
	s_delay_alu instid0(VALU_DEP_1)
	v_wmma_f32_16x16x16_f16 v[40:47], v[68:71], v[64:67], v[40:47]
	v_wmma_f32_16x16x16_f16 v[48:55], v[76:79], v[64:67], v[48:55]
	;; [unrolled: 1-line block ×4, first 2 shown]
	.loc	1 105 25                        ; attention_bwd.py:105:25 @[ attention_bwd.py:253:40 ]
	v_exp_f32_e32 v64, v108
	v_exp_f32_e32 v68, v104
	;; [unrolled: 1-line block ×3, first 2 shown]
	s_delay_alu instid0(TRANS32_DEP_3) | instskip(SKIP_1) | instid1(TRANS32_DEP_2)
	.loc	1 114 19                        ; attention_bwd.py:114:19 @[ attention_bwd.py:253:40 ]
	v_fma_mixlo_f16 v67, v130, v64, 0
	.loc	1 105 25                        ; attention_bwd.py:105:25 @[ attention_bwd.py:253:40 ]
	v_exp_f32_e32 v64, v109
	.loc	1 114 19                        ; attention_bwd.py:114:19 @[ attention_bwd.py:253:40 ]
	v_fma_mixlo_f16 v66, v128, v65, 0
	s_delay_alu instid0(TRANS32_DEP_3) | instid1(VALU_DEP_2)
	.loc	1 117 25                        ; attention_bwd.py:117:25 @[ attention_bwd.py:253:40 ]
	v_fma_mixhi_f16 v67, v131, v68, 0
	.loc	1 105 25                        ; attention_bwd.py:105:25 @[ attention_bwd.py:253:40 ]
	v_exp_f32_e32 v68, v105
	s_delay_alu instid0(TRANS32_DEP_2) | instskip(SKIP_1) | instid1(TRANS32_DEP_2)
	.loc	1 114 19                        ; attention_bwd.py:114:19 @[ attention_bwd.py:253:40 ]
	v_fma_mixlo_f16 v65, v126, v64, 0
	.loc	1 105 25                        ; attention_bwd.py:105:25 @[ attention_bwd.py:253:40 ]
	v_exp_f32_e32 v64, v110
	.loc	1 117 25                        ; attention_bwd.py:117:25 @[ attention_bwd.py:253:40 ]
	v_fma_mixhi_f16 v66, v129, v68, 0
	.loc	1 105 25                        ; attention_bwd.py:105:25 @[ attention_bwd.py:253:40 ]
	v_exp_f32_e32 v68, v106
	s_delay_alu instid0(TRANS32_DEP_2) | instskip(NEXT) | instid1(TRANS32_DEP_1)
	.loc	1 114 19                        ; attention_bwd.py:114:19 @[ attention_bwd.py:253:40 ]
	v_fma_mixlo_f16 v64, v124, v64, 0
	.loc	1 117 25                        ; attention_bwd.py:117:25 @[ attention_bwd.py:253:40 ]
	v_fma_mixhi_f16 v65, v127, v68, 0
	.loc	1 105 25                        ; attention_bwd.py:105:25 @[ attention_bwd.py:253:40 ]
	v_exp_f32_e32 v68, v107
	s_delay_alu instid0(TRANS32_DEP_1) | instskip(SKIP_2) | instid1(VALU_DEP_1)
	.loc	1 117 25                        ; attention_bwd.py:117:25 @[ attention_bwd.py:253:40 ]
	v_fma_mixhi_f16 v64, v125, v68, 0
	.loc	1 105 25                        ; attention_bwd.py:105:25 @[ attention_bwd.py:253:40 ]
	v_exp_f32_e32 v68, v96
	.loc	1 117 25                        ; attention_bwd.py:117:25 @[ attention_bwd.py:253:40 ]
	s_wait_dscnt 0x0
	v_wmma_f32_16x16x16_f16 v[8:15], v[72:75], v[64:67], v[8:15]
	v_wmma_f32_16x16x16_f16 v[16:23], v[80:83], v[64:67], v[16:23]
	;; [unrolled: 1-line block ×4, first 2 shown]
	.loc	1 105 25                        ; attention_bwd.py:105:25 @[ attention_bwd.py:253:40 ]
	v_exp_f32_e32 v64, v100
	v_exp_f32_e32 v65, v103
	s_delay_alu instid0(TRANS32_DEP_2) | instskip(NEXT) | instid1(TRANS32_DEP_1)
	.loc	1 114 19                        ; attention_bwd.py:114:19 @[ attention_bwd.py:253:40 ]
	v_fma_mixlo_f16 v67, v122, v64, 0
	v_fma_mixlo_f16 v66, v120, v65, 0
	.loc	1 105 25                        ; attention_bwd.py:105:25 @[ attention_bwd.py:253:40 ]
	v_exp_f32_e32 v64, v101
	s_delay_alu instid0(VALU_DEP_2) | instskip(SKIP_1) | instid1(TRANS32_DEP_2)
	.loc	1 117 25                        ; attention_bwd.py:117:25 @[ attention_bwd.py:253:40 ]
	v_fma_mixhi_f16 v67, v123, v68, 0
	.loc	1 105 25                        ; attention_bwd.py:105:25 @[ attention_bwd.py:253:40 ]
	v_exp_f32_e32 v68, v97
	.loc	1 114 19                        ; attention_bwd.py:114:19 @[ attention_bwd.py:253:40 ]
	v_fma_mixlo_f16 v65, v148, v64, 0
	.loc	1 105 25                        ; attention_bwd.py:105:25 @[ attention_bwd.py:253:40 ]
	v_exp_f32_e32 v64, v102
	s_delay_alu instid0(TRANS32_DEP_2) | instskip(SKIP_1) | instid1(TRANS32_DEP_2)
	.loc	1 117 25                        ; attention_bwd.py:117:25 @[ attention_bwd.py:253:40 ]
	v_fma_mixhi_f16 v66, v121, v68, 0
	.loc	1 105 25                        ; attention_bwd.py:105:25 @[ attention_bwd.py:253:40 ]
	v_exp_f32_e32 v68, v98
	.loc	1 114 19                        ; attention_bwd.py:114:19 @[ attention_bwd.py:253:40 ]
	v_fma_mixlo_f16 v64, v149, v64, 0
	s_delay_alu instid0(TRANS32_DEP_1) | instskip(SKIP_1) | instid1(TRANS32_DEP_1)
	.loc	1 117 25                        ; attention_bwd.py:117:25 @[ attention_bwd.py:253:40 ]
	v_fma_mixhi_f16 v65, v150, v68, 0
	.loc	1 105 25                        ; attention_bwd.py:105:25 @[ attention_bwd.py:253:40 ]
	v_exp_f32_e32 v68, v99
	.loc	1 117 25                        ; attention_bwd.py:117:25 @[ attention_bwd.py:253:40 ]
	v_fma_mixhi_f16 v64, v151, v68, 0
	s_delay_alu instid0(VALU_DEP_1)
	v_wmma_f32_16x16x16_f16 v[40:47], v[72:75], v[64:67], v[40:47]
	v_wmma_f32_16x16x16_f16 v[48:55], v[80:83], v[64:67], v[48:55]
	;; [unrolled: 1-line block ×4, first 2 shown]
.Ltmp160:
.LBB0_214:                              ; %.critedge
	.loc	1 0 25 is_stmt 0                ; attention_bwd.py:0:25
	s_clause 0x3                            ; 32-byte Folded Reload
	scratch_load_b64 v[64:65], off, off offset:1188 th:TH_LOAD_LU
	scratch_load_b64 v[170:171], off, off offset:1196 th:TH_LOAD_LU
	;; [unrolled: 1-line block ×4, first 2 shown]
	.loc	1 152 10 is_stmt 1              ; attention_bwd.py:152:10
	s_add_nc_u64 s[0:1], s[14:15], s[16:17]
	s_clause 0x1c                           ; 232-byte Folded Reload
	scratch_load_b64 v[128:129], off, off offset:1020 th:TH_LOAD_LU
	scratch_load_b64 v[130:131], off, off offset:1028 th:TH_LOAD_LU
	;; [unrolled: 1-line block ×29, first 2 shown]
	.loc	1 257 19                        ; attention_bwd.py:257:19
	s_wait_loadcnt 0x20
	s_wait_alu depctr_sa_sdst(0)
	v_add_co_u32 v126, vcc_lo, s0, v64
	s_wait_alu depctr_va_vcc(0)
	v_add_co_ci_u32_e64 v127, null, s1, v65, vcc_lo
	scratch_load_b64 v[64:65], off, off offset:1284 th:TH_LOAD_LU ; 8-byte Folded Reload
	s_wait_loadcnt 0x0
	v_add_co_u32 v190, vcc_lo, s0, v64
	s_wait_alu depctr_va_vcc(0)
	v_add_co_ci_u32_e64 v191, null, s1, v65, vcc_lo
	.loc	1 257 50 is_stmt 0              ; attention_bwd.py:257:50
	v_add_co_u32 v64, vcc_lo, v126, v128
	s_wait_alu depctr_va_vcc(0)
	v_add_co_ci_u32_e64 v65, null, v127, v129, vcc_lo
	v_add_co_u32 v66, vcc_lo, v126, v130
	s_wait_alu depctr_va_vcc(0)
	v_add_co_ci_u32_e64 v67, null, v127, v131, vcc_lo
	;; [unrolled: 3-line block ×60, first 2 shown]
	v_add_co_u32 v184, vcc_lo, v190, v184
	s_mov_b32 s0, 0x3f317218
	s_wait_alu depctr_va_vcc(0)
	v_add_co_ci_u32_e64 v185, null, v191, v185, vcc_lo
	v_add_co_u32 v186, vcc_lo, v190, v186
	.loc	1 259 22 is_stmt 1              ; attention_bwd.py:259:22
	s_wait_alu depctr_sa_sdst(0)
	v_fma_mixlo_f16 v8, v8, s0, 0
	.loc	1 257 50                        ; attention_bwd.py:257:50
	s_wait_alu depctr_va_vcc(0)
	v_add_co_ci_u32_e64 v187, null, v191, v187, vcc_lo
	v_add_co_u32 v188, vcc_lo, v190, v188
	.loc	1 259 22                        ; attention_bwd.py:259:22
	v_fma_mixlo_f16 v9, v9, s0, 0
	v_fma_mixlo_f16 v10, v10, s0, 0
	.loc	1 257 50                        ; attention_bwd.py:257:50
	s_wait_alu depctr_va_vcc(0)
	v_add_co_ci_u32_e64 v189, null, v191, v189, vcc_lo
	v_add_co_u32 v190, vcc_lo, v190, v192
	.loc	1 259 22                        ; attention_bwd.py:259:22
	v_fma_mixlo_f16 v11, v11, s0, 0
	v_fma_mixlo_f16 v12, v12, s0, 0
	.loc	1 257 50                        ; attention_bwd.py:257:50
	s_wait_alu depctr_va_vcc(0)
	v_add_co_ci_u32_e64 v191, null, v191, v193, vcc_lo
	.loc	1 259 22                        ; attention_bwd.py:259:22
	v_fma_mixlo_f16 v13, v13, s0, 0
	v_fma_mixlo_f16 v14, v14, s0, 0
	;; [unrolled: 1-line block ×59, first 2 shown]
	s_clause 0x1f
	global_store_b16 v[64:65], v8, off
	global_store_b16 v[66:67], v9, off
	;; [unrolled: 1-line block ×32, first 2 shown]
	s_clause 0x1f
	global_store_b16 v[128:129], v40, off
	global_store_b16 v[130:131], v41, off
	;; [unrolled: 1-line block ×32, first 2 shown]
	.loc	1 259 4 is_stmt 0               ; attention_bwd.py:259:4
	s_nop 0
	s_sendmsg sendmsg(MSG_DEALLOC_VGPRS)
	s_endpgm
.Ltmp161:
	.section	.rodata,"a",@progbits
	.p2align	6, 0x0
	.amdhsa_kernel _attn_bwd
		.amdhsa_group_segment_fixed_size 0
		.amdhsa_private_segment_fixed_size 1644
		.amdhsa_kernarg_size 120
		.amdhsa_user_sgpr_count 2
		.amdhsa_user_sgpr_dispatch_ptr 0
		.amdhsa_user_sgpr_queue_ptr 0
		.amdhsa_user_sgpr_kernarg_segment_ptr 1
		.amdhsa_user_sgpr_dispatch_id 0
		.amdhsa_user_sgpr_private_segment_size 0
		.amdhsa_wavefront_size32 1
		.amdhsa_uses_dynamic_stack 0
		.amdhsa_enable_private_segment 1
		.amdhsa_system_sgpr_workgroup_id_x 1
		.amdhsa_system_sgpr_workgroup_id_y 1
		.amdhsa_system_sgpr_workgroup_id_z 1
		.amdhsa_system_sgpr_workgroup_info 0
		.amdhsa_system_vgpr_workitem_id 0
		.amdhsa_next_free_vgpr 256
		.amdhsa_next_free_sgpr 105
		.amdhsa_reserve_vcc 1
		.amdhsa_float_round_mode_32 0
		.amdhsa_float_round_mode_16_64 0
		.amdhsa_float_denorm_mode_32 3
		.amdhsa_float_denorm_mode_16_64 3
		.amdhsa_fp16_overflow 0
		.amdhsa_workgroup_processor_mode 1
		.amdhsa_memory_ordered 1
		.amdhsa_forward_progress 1
		.amdhsa_inst_pref_size 255
		.amdhsa_round_robin_scheduling 0
		.amdhsa_exception_fp_ieee_invalid_op 0
		.amdhsa_exception_fp_denorm_src 0
		.amdhsa_exception_fp_ieee_div_zero 0
		.amdhsa_exception_fp_ieee_overflow 0
		.amdhsa_exception_fp_ieee_underflow 0
		.amdhsa_exception_fp_ieee_inexact 0
		.amdhsa_exception_int_div_zero 0
	.end_amdhsa_kernel
	.text
.Lfunc_end0:
	.size	_attn_bwd, .Lfunc_end0-_attn_bwd
	.cfi_endproc
                                        ; -- End function
	.set _attn_bwd.num_vgpr, 256
	.set _attn_bwd.num_agpr, 0
	.set _attn_bwd.numbered_sgpr, 105
	.set _attn_bwd.num_named_barrier, 0
	.set _attn_bwd.private_seg_size, 1644
	.set _attn_bwd.uses_vcc, 1
	.set _attn_bwd.uses_flat_scratch, 1
	.set _attn_bwd.has_dyn_sized_stack, 0
	.set _attn_bwd.has_recursion, 0
	.set _attn_bwd.has_indirect_call, 0
	.section	.AMDGPU.csdata,"",@progbits
; Kernel info:
; codeLenInByte = 79084
; TotalNumSgprs: 107
; NumVgprs: 256
; ScratchSize: 1644
; MemoryBound: 0
; FloatMode: 240
; IeeeMode: 1
; LDSByteSize: 0 bytes/workgroup (compile time only)
; SGPRBlocks: 0
; VGPRBlocks: 31
; NumSGPRsForWavesPerEU: 107
; NumVGPRsForWavesPerEU: 256
; Occupancy: 5
; WaveLimiterHint : 0
; COMPUTE_PGM_RSRC2:SCRATCH_EN: 1
; COMPUTE_PGM_RSRC2:USER_SGPR: 2
; COMPUTE_PGM_RSRC2:TRAP_HANDLER: 0
; COMPUTE_PGM_RSRC2:TGID_X_EN: 1
; COMPUTE_PGM_RSRC2:TGID_Y_EN: 1
; COMPUTE_PGM_RSRC2:TGID_Z_EN: 1
; COMPUTE_PGM_RSRC2:TIDIG_COMP_CNT: 0
	.text
	.p2alignl 7, 3214868480
	.fill 96, 4, 3214868480
	.section	.AMDGPU.gpr_maximums,"",@progbits
	.set amdgpu.max_num_vgpr, 0
	.set amdgpu.max_num_agpr, 0
	.set amdgpu.max_num_sgpr, 0
	.set amdgpu.max_num_named_barrier, 0
	.text
	.section	.debug_abbrev,"",@progbits
	.byte	1                               ; Abbreviation Code
	.byte	17                              ; DW_TAG_compile_unit
	.byte	1                               ; DW_CHILDREN_yes
	.byte	37                              ; DW_AT_producer
	.byte	14                              ; DW_FORM_strp
	.byte	19                              ; DW_AT_language
	.byte	5                               ; DW_FORM_data2
	.byte	3                               ; DW_AT_name
	.byte	14                              ; DW_FORM_strp
	.byte	16                              ; DW_AT_stmt_list
	.byte	23                              ; DW_FORM_sec_offset
	.byte	27                              ; DW_AT_comp_dir
	.byte	14                              ; DW_FORM_strp
	.byte	17                              ; DW_AT_low_pc
	.byte	1                               ; DW_FORM_addr
	.byte	18                              ; DW_AT_high_pc
	.byte	6                               ; DW_FORM_data4
	.byte	0                               ; EOM(1)
	.byte	0                               ; EOM(2)
	.byte	2                               ; Abbreviation Code
	.byte	46                              ; DW_TAG_subprogram
	.byte	0                               ; DW_CHILDREN_no
	.byte	3                               ; DW_AT_name
	.byte	14                              ; DW_FORM_strp
	.byte	32                              ; DW_AT_inline
	.byte	11                              ; DW_FORM_data1
	.byte	0                               ; EOM(1)
	.byte	0                               ; EOM(2)
	.byte	3                               ; Abbreviation Code
	.byte	46                              ; DW_TAG_subprogram
	.byte	1                               ; DW_CHILDREN_yes
	.byte	17                              ; DW_AT_low_pc
	.byte	1                               ; DW_FORM_addr
	.byte	18                              ; DW_AT_high_pc
	.byte	6                               ; DW_FORM_data4
	.byte	49                              ; DW_AT_abstract_origin
	.byte	19                              ; DW_FORM_ref4
	.byte	0                               ; EOM(1)
	.byte	0                               ; EOM(2)
	.byte	4                               ; Abbreviation Code
	.byte	29                              ; DW_TAG_inlined_subroutine
	.byte	0                               ; DW_CHILDREN_no
	.byte	49                              ; DW_AT_abstract_origin
	.byte	19                              ; DW_FORM_ref4
	.byte	85                              ; DW_AT_ranges
	.byte	23                              ; DW_FORM_sec_offset
	.byte	88                              ; DW_AT_call_file
	.byte	11                              ; DW_FORM_data1
	.byte	89                              ; DW_AT_call_line
	.byte	11                              ; DW_FORM_data1
	.byte	87                              ; DW_AT_call_column
	.byte	11                              ; DW_FORM_data1
	.byte	0                               ; EOM(1)
	.byte	0                               ; EOM(2)
	;; [unrolled: 1-line block ×3, first 2 shown]
	.section	.debug_info,"",@progbits
.Lcu_begin0:
	.long	.Ldebug_info_end0-.Ldebug_info_start0 ; Length of Unit
.Ldebug_info_start0:
	.short	4                               ; DWARF version number
	.long	.debug_abbrev                   ; Offset Into Abbrev. Section
	.byte	8                               ; Address Size (in bytes)
	.byte	1                               ; Abbrev [1] 0xb:0x68 DW_TAG_compile_unit
	.long	.Linfo_string0                  ; DW_AT_producer
	.short	2                               ; DW_AT_language
	.long	.Linfo_string1                  ; DW_AT_name
	.long	.Lline_table_start0             ; DW_AT_stmt_list
	.long	.Linfo_string2                  ; DW_AT_comp_dir
	.quad	.Lfunc_begin0                   ; DW_AT_low_pc
	.long	.Lfunc_end0-.Lfunc_begin0       ; DW_AT_high_pc
	.byte	2                               ; Abbrev [2] 0x2a:0x6 DW_TAG_subprogram
	.long	.Linfo_string3                  ; DW_AT_name
	.byte	1                               ; DW_AT_inline
	.byte	3                               ; Abbrev [3] 0x30:0x42 DW_TAG_subprogram
	.quad	.Lfunc_begin0                   ; DW_AT_low_pc
	.long	.Lfunc_end0-.Lfunc_begin0       ; DW_AT_high_pc
	.long	42                              ; DW_AT_abstract_origin
	.byte	4                               ; Abbrev [4] 0x41:0xc DW_TAG_inlined_subroutine
	.long	42                              ; DW_AT_abstract_origin
	.long	.Ldebug_ranges0                 ; DW_AT_ranges
	.byte	1                               ; DW_AT_call_file
	.byte	253                             ; DW_AT_call_line
	.byte	40                              ; DW_AT_call_column
	.byte	4                               ; Abbrev [4] 0x4d:0xc DW_TAG_inlined_subroutine
	.long	42                              ; DW_AT_abstract_origin
	.long	.Ldebug_ranges1                 ; DW_AT_ranges
	.byte	1                               ; DW_AT_call_file
	.byte	184                             ; DW_AT_call_line
	.byte	50                              ; DW_AT_call_column
	;; [unrolled: 6-line block ×4, first 2 shown]
	.byte	0                               ; End Of Children Mark
	.byte	0                               ; End Of Children Mark
.Ldebug_info_end0:
	.section	.debug_ranges,"",@progbits
.Ldebug_ranges0:
	.quad	.Ltmp0-.Lfunc_begin0
	.quad	.Ltmp1-.Lfunc_begin0
	;; [unrolled: 1-line block ×16, first 2 shown]
	.quad	0
	.quad	0
.Ldebug_ranges1:
	.quad	.Ltmp2-.Lfunc_begin0
	.quad	.Ltmp3-.Lfunc_begin0
	.quad	.Ltmp4-.Lfunc_begin0
	.quad	.Ltmp5-.Lfunc_begin0
	.quad	.Ltmp6-.Lfunc_begin0
	.quad	.Ltmp7-.Lfunc_begin0
	.quad	.Ltmp8-.Lfunc_begin0
	.quad	.Ltmp9-.Lfunc_begin0
	.quad	.Ltmp10-.Lfunc_begin0
	.quad	.Ltmp11-.Lfunc_begin0
	.quad	.Ltmp12-.Lfunc_begin0
	.quad	.Ltmp13-.Lfunc_begin0
	.quad	.Ltmp14-.Lfunc_begin0
	.quad	.Ltmp15-.Lfunc_begin0
	.quad	.Ltmp16-.Lfunc_begin0
	.quad	.Ltmp17-.Lfunc_begin0
	.quad	.Ltmp18-.Lfunc_begin0
	.quad	.Ltmp19-.Lfunc_begin0
	.quad	.Ltmp20-.Lfunc_begin0
	.quad	.Ltmp21-.Lfunc_begin0
	.quad	.Ltmp22-.Lfunc_begin0
	.quad	.Ltmp23-.Lfunc_begin0
	.quad	.Ltmp24-.Lfunc_begin0
	.quad	.Ltmp25-.Lfunc_begin0
	.quad	.Ltmp26-.Lfunc_begin0
	.quad	.Ltmp27-.Lfunc_begin0
	.quad	.Ltmp28-.Lfunc_begin0
	.quad	.Ltmp29-.Lfunc_begin0
	.quad	.Ltmp30-.Lfunc_begin0
	.quad	.Ltmp31-.Lfunc_begin0
	.quad	.Ltmp32-.Lfunc_begin0
	.quad	.Ltmp33-.Lfunc_begin0
	.quad	.Ltmp34-.Lfunc_begin0
	.quad	.Ltmp35-.Lfunc_begin0
	.quad	.Ltmp36-.Lfunc_begin0
	.quad	.Ltmp37-.Lfunc_begin0
	.quad	.Ltmp38-.Lfunc_begin0
	.quad	.Ltmp39-.Lfunc_begin0
	.quad	.Ltmp40-.Lfunc_begin0
	.quad	.Ltmp41-.Lfunc_begin0
	.quad	.Ltmp42-.Lfunc_begin0
	.quad	.Ltmp43-.Lfunc_begin0
	.quad	.Ltmp44-.Lfunc_begin0
	.quad	.Ltmp45-.Lfunc_begin0
	.quad	.Ltmp46-.Lfunc_begin0
	.quad	.Ltmp47-.Lfunc_begin0
	.quad	.Ltmp48-.Lfunc_begin0
	.quad	.Ltmp49-.Lfunc_begin0
	.quad	.Ltmp50-.Lfunc_begin0
	.quad	.Ltmp51-.Lfunc_begin0
	.quad	.Ltmp52-.Lfunc_begin0
	.quad	.Ltmp53-.Lfunc_begin0
	.quad	.Ltmp54-.Lfunc_begin0
	.quad	.Ltmp55-.Lfunc_begin0
	.quad	.Ltmp56-.Lfunc_begin0
	.quad	.Ltmp57-.Lfunc_begin0
	.quad	.Ltmp58-.Lfunc_begin0
	.quad	.Ltmp59-.Lfunc_begin0
	.quad	.Ltmp60-.Lfunc_begin0
	.quad	.Ltmp61-.Lfunc_begin0
	.quad	.Ltmp62-.Lfunc_begin0
	.quad	.Ltmp63-.Lfunc_begin0
	.quad	.Ltmp66-.Lfunc_begin0
	.quad	.Ltmp67-.Lfunc_begin0
	.quad	.Ltmp69-.Lfunc_begin0
	.quad	.Ltmp70-.Lfunc_begin0
	.quad	.Ltmp71-.Lfunc_begin0
	.quad	.Ltmp72-.Lfunc_begin0
	.quad	.Ltmp73-.Lfunc_begin0
	.quad	.Ltmp74-.Lfunc_begin0
	.quad	.Ltmp76-.Lfunc_begin0
	.quad	.Ltmp77-.Lfunc_begin0
	.quad	.Ltmp80-.Lfunc_begin0
	.quad	.Ltmp81-.Lfunc_begin0
	.quad	.Ltmp82-.Lfunc_begin0
	.quad	.Ltmp83-.Lfunc_begin0
	.quad	.Ltmp84-.Lfunc_begin0
	.quad	.Ltmp85-.Lfunc_begin0
	.quad	.Ltmp87-.Lfunc_begin0
	.quad	.Ltmp88-.Lfunc_begin0
	.quad	.Ltmp91-.Lfunc_begin0
	.quad	.Ltmp92-.Lfunc_begin0
	.quad	.Ltmp94-.Lfunc_begin0
	.quad	.Ltmp95-.Lfunc_begin0
	.quad	.Ltmp97-.Lfunc_begin0
	.quad	.Ltmp98-.Lfunc_begin0
	.quad	.Ltmp99-.Lfunc_begin0
	.quad	.Ltmp100-.Lfunc_begin0
	.quad	.Ltmp102-.Lfunc_begin0
	.quad	.Ltmp103-.Lfunc_begin0
	.quad	.Ltmp106-.Lfunc_begin0
	.quad	.Ltmp107-.Lfunc_begin0
	.quad	.Ltmp109-.Lfunc_begin0
	.quad	.Ltmp110-.Lfunc_begin0
	.quad	.Ltmp111-.Lfunc_begin0
	.quad	.Ltmp112-.Lfunc_begin0
	.quad	.Ltmp113-.Lfunc_begin0
	.quad	.Ltmp114-.Lfunc_begin0
	.quad	0
	.quad	0
.Ldebug_ranges2:
	.quad	.Ltmp59-.Lfunc_begin0
	.quad	.Ltmp60-.Lfunc_begin0
	;; [unrolled: 1-line block ×60, first 2 shown]
	.quad	0
	.quad	0
.Ldebug_ranges3:
	.quad	.Ltmp126-.Lfunc_begin0
	.quad	.Ltmp127-.Lfunc_begin0
	;; [unrolled: 1-line block ×32, first 2 shown]
	.quad	0
	.quad	0
	.section	.debug_str,"MS",@progbits,1
.Linfo_string0:
	.asciz	"triton"                        ; string offset=0
.Linfo_string1:
	.asciz	"attention_bwd.py"              ; string offset=7
.Linfo_string2:
	.asciz	"/root/src/amdgpu-assembly/repos/triton-lang__triton-aot" ; string offset=24
.Linfo_string3:
	.asciz	"_attn_bwd"                     ; string offset=80
	.section	".note.GNU-stack","",@progbits
	.amdgpu_metadata
---
amdhsa.kernels:
  - .args:
      - .address_space:  global
        .offset:         0
        .size:           8
        .value_kind:     global_buffer
      - .address_space:  global
        .offset:         8
        .size:           8
        .value_kind:     global_buffer
      - .address_space:  global
        .offset:         16
        .size:           8
        .value_kind:     global_buffer
      - .offset:         24
        .size:           4
        .value_kind:     by_value
      - .address_space:  global
        .offset:         32
        .size:           8
        .value_kind:     global_buffer
      - .address_space:  global
        .offset:         40
        .size:           8
        .value_kind:     global_buffer
      - .address_space:  global
        .offset:         48
        .size:           8
        .value_kind:     global_buffer
      - .address_space:  global
        .offset:         56
        .size:           8
        .value_kind:     global_buffer
      - .address_space:  global
        .offset:         64
        .size:           8
        .value_kind:     global_buffer
      - .address_space:  global
        .offset:         72
        .size:           8
        .value_kind:     global_buffer
      - .offset:         80
        .size:           4
        .value_kind:     by_value
      - .offset:         84
        .size:           4
        .value_kind:     by_value
      - .offset:         88
        .size:           4
        .value_kind:     by_value
      - .offset:         92
        .size:           4
        .value_kind:     by_value
      - .offset:         96
        .size:           4
        .value_kind:     by_value
      - .offset:         100
        .size:           4
        .value_kind:     by_value
      - .address_space:  global
        .offset:         104
        .size:           8
        .value_kind:     global_buffer
      - .address_space:  global
        .offset:         112
        .size:           8
        .value_kind:     global_buffer
    .group_segment_fixed_size: 0
    .kernarg_segment_align: 8
    .kernarg_segment_size: 120
    .max_flat_workgroup_size: 128
    .name:           _attn_bwd
    .private_segment_fixed_size: 1644
    .sgpr_count:     107
    .sgpr_spill_count: 211
    .symbol:         _attn_bwd.kd
    .uniform_work_group_size: 1
    .uses_dynamic_stack: false
    .vgpr_count:     256
    .vgpr_spill_count: 707
    .wavefront_size: 32
    .workgroup_processor_mode: 1
amdhsa.target:   amdgcn-amd-amdhsa--gfx1201
amdhsa.version:
  - 1
  - 2
...

	.end_amdgpu_metadata
	.section	.debug_line,"",@progbits
.Lline_table_start0:
